;; amdgpu-corpus repo=ROCm/rocFFT kind=compiled arch=gfx1201 opt=O3
	.text
	.amdgcn_target "amdgcn-amd-amdhsa--gfx1201"
	.amdhsa_code_object_version 6
	.protected	bluestein_single_fwd_len3888_dim1_sp_op_CI_CI ; -- Begin function bluestein_single_fwd_len3888_dim1_sp_op_CI_CI
	.globl	bluestein_single_fwd_len3888_dim1_sp_op_CI_CI
	.p2align	8
	.type	bluestein_single_fwd_len3888_dim1_sp_op_CI_CI,@function
bluestein_single_fwd_len3888_dim1_sp_op_CI_CI: ; @bluestein_single_fwd_len3888_dim1_sp_op_CI_CI
; %bb.0:
	s_load_b128 s[8:11], s[0:1], 0x28
	v_mul_u32_u24_e32 v1, 0x195, v0
	s_mov_b32 s2, exec_lo
	v_mov_b32_e32 v113, 0
	s_delay_alu instid0(VALU_DEP_2) | instskip(NEXT) | instid1(VALU_DEP_1)
	v_lshrrev_b32_e32 v1, 17, v1
	v_add_nc_u32_e32 v112, ttmp9, v1
	s_wait_kmcnt 0x0
	s_delay_alu instid0(VALU_DEP_1)
	v_cmpx_gt_u64_e64 s[8:9], v[112:113]
	s_cbranch_execz .LBB0_17
; %bb.1:
	s_clause 0x1
	s_load_b64 s[8:9], s[0:1], 0x0
	s_load_b64 s[12:13], s[0:1], 0x38
	v_mul_lo_u16 v1, 0x144, v1
	s_delay_alu instid0(VALU_DEP_1) | instskip(NEXT) | instid1(VALU_DEP_1)
	v_sub_nc_u16 v0, v0, v1
	v_and_b32_e32 v114, 0xffff, v0
	v_cmp_lt_u16_e64 s2, 0xf2, v0
	v_cmp_gt_u16_e32 vcc_lo, 0xf3, v0
	s_delay_alu instid0(VALU_DEP_3)
	v_lshlrev_b32_e32 v113, 3, v114
	s_and_saveexec_b32 s14, vcc_lo
	s_cbranch_execz .LBB0_3
; %bb.2:
	s_load_b64 s[4:5], s[0:1], 0x18
	s_delay_alu instid0(VALU_DEP_1)
	v_add_nc_u32_e32 v66, 0xf00, v113
	v_add_nc_u32_e32 v68, 0x2d80, v113
	s_wait_kmcnt 0x0
	s_load_b128 s[4:7], s[4:5], 0x0
	s_wait_kmcnt 0x0
	v_mad_co_u64_u32 v[0:1], null, s6, v112, 0
	v_mad_co_u64_u32 v[2:3], null, s4, v114, 0
	s_delay_alu instid0(VALU_DEP_1) | instskip(NEXT) | instid1(VALU_DEP_1)
	v_mad_co_u64_u32 v[4:5], null, s7, v112, v[1:2]
	v_mad_co_u64_u32 v[5:6], null, s5, v114, v[3:4]
	v_mov_b32_e32 v1, v4
	s_mul_u64 s[4:5], s[4:5], 0x798
	s_delay_alu instid0(VALU_DEP_1) | instskip(NEXT) | instid1(VALU_DEP_3)
	v_lshlrev_b64_e32 v[0:1], 3, v[0:1]
	v_mov_b32_e32 v3, v5
	s_clause 0x3
	global_load_b64 v[4:5], v113, s[8:9]
	global_load_b64 v[6:7], v113, s[8:9] offset:1944
	global_load_b64 v[8:9], v113, s[8:9] offset:3888
	;; [unrolled: 1-line block ×3, first 2 shown]
	v_add_co_u32 v18, s3, s10, v0
	v_lshlrev_b64_e32 v[2:3], 3, v[2:3]
	v_add_co_ci_u32_e64 v19, s3, s11, v1, s3
	s_clause 0x9
	global_load_b64 v[0:1], v113, s[8:9] offset:7776
	global_load_b64 v[12:13], v113, s[8:9] offset:9720
	global_load_b64 v[14:15], v113, s[8:9] offset:11664
	global_load_b64 v[16:17], v113, s[8:9] offset:13608
	global_load_b64 v[20:21], v113, s[8:9] offset:15552
	global_load_b64 v[22:23], v113, s[8:9] offset:17496
	global_load_b64 v[24:25], v113, s[8:9] offset:19440
	global_load_b64 v[26:27], v113, s[8:9] offset:21384
	global_load_b64 v[30:31], v113, s[8:9] offset:23328
	global_load_b64 v[32:33], v113, s[8:9] offset:25272
	v_add_co_u32 v2, s3, v18, v2
	s_wait_alu 0xf1ff
	v_add_co_ci_u32_e64 v3, s3, v19, v3, s3
	s_wait_alu 0xfffe
	s_delay_alu instid0(VALU_DEP_2) | instskip(SKIP_1) | instid1(VALU_DEP_2)
	v_add_co_u32 v18, s3, v2, s4
	s_wait_alu 0xf1ff
	v_add_co_ci_u32_e64 v19, s3, s5, v3, s3
	global_load_b64 v[2:3], v[2:3], off
	v_add_co_u32 v28, s3, v18, s4
	s_wait_alu 0xf1ff
	v_add_co_ci_u32_e64 v29, s3, s5, v19, s3
	s_delay_alu instid0(VALU_DEP_2) | instskip(SKIP_1) | instid1(VALU_DEP_2)
	v_add_co_u32 v34, s3, v28, s4
	s_wait_alu 0xf1ff
	v_add_co_ci_u32_e64 v35, s3, s5, v29, s3
	s_delay_alu instid0(VALU_DEP_2) | instskip(SKIP_1) | instid1(VALU_DEP_2)
	v_add_co_u32 v36, s3, v34, s4
	s_wait_alu 0xf1ff
	v_add_co_ci_u32_e64 v37, s3, s5, v35, s3
	s_clause 0x2
	global_load_b64 v[18:19], v[18:19], off
	global_load_b64 v[28:29], v[28:29], off
	;; [unrolled: 1-line block ×3, first 2 shown]
	v_add_co_u32 v38, s3, v36, s4
	s_wait_alu 0xf1ff
	v_add_co_ci_u32_e64 v39, s3, s5, v37, s3
	global_load_b64 v[36:37], v[36:37], off
	v_add_co_u32 v40, s3, v38, s4
	s_wait_alu 0xf1ff
	v_add_co_ci_u32_e64 v41, s3, s5, v39, s3
	global_load_b64 v[38:39], v[38:39], off
	;; [unrolled: 4-line block ×11, first 2 shown]
	s_clause 0x1
	global_load_b64 v[60:61], v113, s[8:9] offset:27216
	global_load_b64 v[62:63], v113, s[8:9] offset:29160
	global_load_b64 v[58:59], v[58:59], off
	v_add_nc_u32_e32 v69, 0x3c80, v113
	v_add_nc_u32_e32 v70, 0x4bc0, v113
	s_wait_loadcnt 0x11
	v_mul_f32_e32 v64, v3, v5
	v_mul_f32_e32 v5, v2, v5
	s_delay_alu instid0(VALU_DEP_1)
	v_fma_f32 v65, v3, v4, -v5
	s_wait_loadcnt 0x10
	v_mul_f32_e32 v3, v18, v7
	v_dual_fmac_f32 v64, v2, v4 :: v_dual_add_nc_u32 v67, 0x1e00, v113
	v_dual_mul_f32 v2, v19, v7 :: v_dual_add_nc_u32 v71, 0x5b00, v113
	s_wait_loadcnt 0xf
	v_mul_f32_e32 v5, v28, v9
	s_wait_loadcnt 0xe
	v_dual_mul_f32 v7, v35, v11 :: v_dual_mul_f32 v4, v29, v9
	v_fmac_f32_e32 v2, v18, v6
	v_fma_f32 v3, v19, v6, -v3
	v_mul_f32_e32 v6, v34, v11
	s_delay_alu instid0(VALU_DEP_4)
	v_fmac_f32_e32 v7, v34, v10
	s_wait_loadcnt 0xd
	v_dual_mul_f32 v9, v37, v1 :: v_dual_fmac_f32 v4, v28, v8
	v_fma_f32 v5, v29, v8, -v5
	v_fma_f32 v8, v35, v10, -v6
	ds_store_2addr_b64 v113, v[64:65], v[2:3] offset1:243
	ds_store_2addr_b64 v66, v[4:5], v[7:8] offset0:6 offset1:249
	v_fmac_f32_e32 v9, v36, v0
	v_mul_f32_e32 v1, v36, v1
	s_wait_loadcnt 0xa
	v_mul_f32_e32 v2, v43, v17
	v_mul_f32_e32 v11, v39, v13
	;; [unrolled: 1-line block ×3, first 2 shown]
	v_fma_f32 v10, v37, v0, -v1
	s_wait_loadcnt 0x9
	v_mul_f32_e32 v4, v45, v21
	v_mul_f32_e32 v13, v38, v13
	v_fmac_f32_e32 v2, v42, v16
	v_dual_fmac_f32 v11, v38, v12 :: v_dual_mul_f32 v0, v41, v15
	v_mul_f32_e32 v1, v40, v15
	v_fmac_f32_e32 v4, v44, v20
	v_fma_f32 v12, v39, v12, -v13
	s_wait_loadcnt 0x8
	v_mul_f32_e32 v6, v47, v23
	v_fmac_f32_e32 v0, v40, v14
	s_wait_loadcnt 0x7
	v_mul_f32_e32 v8, v49, v25
	v_fma_f32 v1, v41, v14, -v1
	ds_store_2addr_b64 v67, v[9:10], v[11:12] offset0:12 offset1:255
	v_dual_mul_f32 v5, v44, v21 :: v_dual_fmac_f32 v6, v46, v22
	s_wait_loadcnt 0x6
	v_mul_f32_e32 v11, v50, v27
	v_dual_mul_f32 v7, v46, v23 :: v_dual_fmac_f32 v8, v48, v24
	v_dual_mul_f32 v9, v48, v25 :: v_dual_mul_f32 v10, v51, v27
	s_wait_loadcnt 0x5
	v_mul_f32_e32 v12, v53, v31
	v_mul_f32_e32 v13, v52, v31
	v_fma_f32 v3, v43, v16, -v3
	v_fma_f32 v5, v45, v20, -v5
	v_fmac_f32_e32 v10, v50, v26
	s_wait_loadcnt 0x4
	v_mul_f32_e32 v14, v55, v33
	v_dual_mul_f32 v15, v54, v33 :: v_dual_fmac_f32 v12, v52, v30
	s_wait_loadcnt 0x2
	v_mul_f32_e32 v16, v57, v61
	v_mul_f32_e32 v17, v56, v61
	s_wait_loadcnt 0x0
	v_mul_f32_e32 v19, v58, v63
	v_fmac_f32_e32 v14, v54, v32
	v_mul_f32_e32 v18, v59, v63
	v_fma_f32 v7, v47, v22, -v7
	v_fma_f32 v9, v49, v24, -v9
	;; [unrolled: 1-line block ×5, first 2 shown]
	v_fmac_f32_e32 v16, v56, v60
	v_fma_f32 v17, v57, v60, -v17
	v_fmac_f32_e32 v18, v58, v62
	v_fma_f32 v19, v59, v62, -v19
	v_add_nc_u32_e32 v20, 0x6a00, v113
	ds_store_2addr_b64 v68, v[0:1], v[2:3] offset0:2 offset1:245
	ds_store_2addr_b64 v69, v[4:5], v[6:7] offset0:8 offset1:251
	;; [unrolled: 1-line block ×5, first 2 shown]
.LBB0_3:
	s_or_b32 exec_lo, exec_lo, s14
                                        ; kill: def $vgpr0 killed $sgpr0 killed $exec
	global_wb scope:SCOPE_SE
	s_wait_dscnt 0x0
	s_wait_kmcnt 0x0
	s_barrier_signal -1
	s_barrier_wait -1
	global_inv scope:SCOPE_SE
                                        ; implicit-def: $vgpr14
                                        ; implicit-def: $vgpr26
                                        ; implicit-def: $vgpr22
                                        ; implicit-def: $vgpr30
                                        ; implicit-def: $vgpr18
                                        ; implicit-def: $vgpr6
                                        ; implicit-def: $vgpr2
                                        ; implicit-def: $vgpr10
	s_and_saveexec_b32 s3, vcc_lo
	s_cbranch_execz .LBB0_5
; %bb.4:
	v_add_nc_u32_e32 v0, 0xf00, v113
	v_add_nc_u32_e32 v12, 0x2d80, v113
	;; [unrolled: 1-line block ×7, first 2 shown]
	ds_load_2addr_b64 v[8:11], v113 offset1:243
	ds_load_2addr_b64 v[0:3], v0 offset0:6 offset1:249
	ds_load_2addr_b64 v[4:7], v4 offset0:12 offset1:255
	;; [unrolled: 1-line block ×7, first 2 shown]
.LBB0_5:
	s_wait_alu 0xfffe
	s_or_b32 exec_lo, exec_lo, s3
	s_wait_dscnt 0x3
	v_dual_sub_f32 v28, v8, v28 :: v_dual_sub_f32 v29, v9, v29
	s_wait_dscnt 0x1
	v_dual_sub_f32 v24, v4, v24 :: v_dual_sub_f32 v25, v5, v25
	v_dual_sub_f32 v20, v0, v20 :: v_dual_sub_f32 v21, v1, v21
	s_wait_dscnt 0x0
	v_dual_sub_f32 v12, v16, v12 :: v_dual_sub_f32 v13, v17, v13
	v_dual_sub_f32 v30, v10, v30 :: v_dual_sub_f32 v27, v7, v27
	;; [unrolled: 1-line block ×3, first 2 shown]
	v_fma_f32 v8, v8, 2.0, -v28
	v_fma_f32 v9, v9, 2.0, -v29
	;; [unrolled: 1-line block ×6, first 2 shown]
	v_sub_f32_e32 v34, v11, v31
	v_fma_f32 v35, v10, 2.0, -v30
	v_fma_f32 v31, v6, 2.0, -v26
	v_dual_sub_f32 v22, v2, v22 :: v_dual_sub_f32 v37, v19, v15
	v_add_f32_e32 v15, v24, v29
	v_fma_f32 v33, v1, 2.0, -v21
	v_fma_f32 v17, v17, 2.0, -v13
	;; [unrolled: 1-line block ×3, first 2 shown]
	v_dual_sub_f32 v14, v18, v14 :: v_dual_sub_f32 v7, v9, v5
	v_sub_f32_e32 v1, v8, v4
	v_fma_f32 v11, v11, 2.0, -v34
	v_sub_f32_e32 v10, v28, v25
	v_dual_sub_f32 v16, v32, v16 :: v_dual_sub_f32 v17, v33, v17
	v_fma_f32 v6, v29, 2.0, -v15
	s_delay_alu instid0(VALU_DEP_4)
	v_dual_sub_f32 v25, v20, v13 :: v_dual_sub_f32 v24, v11, v36
	v_add_f32_e32 v29, v12, v21
	v_fma_f32 v38, v2, 2.0, -v22
	v_fma_f32 v3, v3, 2.0, -v23
	;; [unrolled: 1-line block ×6, first 2 shown]
	v_add_f32_e32 v32, v26, v34
	v_sub_f32_e32 v12, v35, v31
	v_fma_f32 v20, v20, 2.0, -v25
	v_sub_f32_e32 v31, v30, v27
	v_fma_f32 v4, v28, 2.0, -v10
	v_fma_f32 v21, v21, 2.0, -v29
	v_sub_f32_e32 v40, v22, v37
	v_add_f32_e32 v41, v14, v23
	s_clause 0x1
	s_load_b64 s[4:5], s[0:1], 0x20
	s_load_b64 s[10:11], s[0:1], 0x8
	v_fma_f32 v0, v8, 2.0, -v1
	v_fma_f32 v28, v33, 2.0, -v17
	;; [unrolled: 1-line block ×3, first 2 shown]
	v_fmamk_f32 v30, v21, 0xbf3504f3, v6
	v_dual_sub_f32 v18, v38, v18 :: v_dual_sub_f32 v19, v3, v19
	v_fma_f32 v26, v34, 2.0, -v32
	v_fmamk_f32 v27, v20, 0xbf3504f3, v4
	v_fma_f32 v22, v22, 2.0, -v40
	v_fma_f32 v23, v23, 2.0, -v41
	v_dual_fmamk_f32 v37, v25, 0x3f3504f3, v10 :: v_dual_fmamk_f32 v36, v40, 0x3f3504f3, v31
	v_fma_f32 v5, v35, 2.0, -v12
	v_fma_f32 v8, v11, 2.0, -v24
	;; [unrolled: 1-line block ×4, first 2 shown]
	v_dual_sub_f32 v3, v0, v9 :: v_dual_fmac_f32 v30, 0x3f3504f3, v20
	s_delay_alu instid0(VALU_DEP_3)
	v_dual_sub_f32 v9, v2, v28 :: v_dual_sub_f32 v14, v5, v14
	v_dual_fmamk_f32 v39, v29, 0x3f3504f3, v15 :: v_dual_add_f32 v34, v18, v24
	v_dual_sub_f32 v11, v1, v17 :: v_dual_fmamk_f32 v28, v22, 0xbf3504f3, v13
	v_dual_add_f32 v35, v16, v7 :: v_dual_fmamk_f32 v38, v41, 0x3f3504f3, v32
	v_dual_fmac_f32 v37, 0xbf3504f3, v29 :: v_dual_lshlrev_b32 v116, 4, v114
	v_fmamk_f32 v29, v23, 0xbf3504f3, v26
	s_delay_alu instid0(VALU_DEP_4) | instskip(NEXT) | instid1(VALU_DEP_4)
	v_dual_fmac_f32 v27, 0xbf3504f3, v21 :: v_dual_fmac_f32 v28, 0xbf3504f3, v23
	v_dual_fmac_f32 v39, 0x3f3504f3, v25 :: v_dual_fmac_f32 v38, 0x3f3504f3, v40
	v_sub_f32_e32 v25, v8, v33
	s_delay_alu instid0(VALU_DEP_4) | instskip(SKIP_3) | instid1(VALU_DEP_4)
	v_fmac_f32_e32 v29, 0x3f3504f3, v22
	v_dual_sub_f32 v33, v12, v19 :: v_dual_fmac_f32 v36, 0xbf3504f3, v41
	v_fmamk_f32 v18, v28, 0x3ec3ef15, v27
	v_fmamk_f32 v21, v34, 0x3f3504f3, v35
	;; [unrolled: 1-line block ×3, first 2 shown]
	s_delay_alu instid0(VALU_DEP_4)
	v_fmamk_f32 v20, v33, 0x3f3504f3, v11
	v_fmamk_f32 v22, v36, 0x3f6c835e, v37
	;; [unrolled: 1-line block ×3, first 2 shown]
                                        ; kill: def $vgpr16_vgpr17 killed $sgpr0_sgpr1 killed $exec
	global_wb scope:SCOPE_SE
	s_wait_kmcnt 0x0
	s_barrier_signal -1
	s_barrier_wait -1
	global_inv scope:SCOPE_SE
	s_and_saveexec_b32 s0, s2
	s_wait_alu 0xfffe
	s_xor_b32 s0, exec_lo, s0
                                        ; implicit-def: $vgpr55_vgpr56
; %bb.6:
	v_mov_b32_e32 v56, 0
                                        ; implicit-def: $vgpr1
                                        ; implicit-def: $vgpr7
                                        ; implicit-def: $vgpr0
                                        ; implicit-def: $vgpr2
                                        ; implicit-def: $vgpr10
                                        ; implicit-def: $vgpr15
                                        ; implicit-def: $vgpr4
                                        ; implicit-def: $vgpr6
                                        ; implicit-def: $vgpr12
                                        ; implicit-def: $vgpr24
                                        ; implicit-def: $vgpr5
                                        ; implicit-def: $vgpr8
                                        ; implicit-def: $vgpr31
                                        ; implicit-def: $vgpr32
                                        ; implicit-def: $vgpr13
                                        ; implicit-def: $vgpr26
                                        ; implicit-def: $vgpr27
                                        ; implicit-def: $vgpr30
                                        ; implicit-def: $vgpr11
                                        ; implicit-def: $vgpr35
                                        ; implicit-def: $vgpr37
                                        ; implicit-def: $vgpr39
; %bb.7:
	s_wait_alu 0xfffe
	s_or_saveexec_b32 s0, s0
	v_dual_sub_f32 v16, v3, v25 :: v_dual_fmac_f32 v19, 0x3f6c835e, v28
	v_dual_add_f32 v17, v14, v9 :: v_dual_fmac_f32 v20, 0xbf3504f3, v34
	v_fmac_f32_e32 v18, 0xbf6c835e, v29
	v_fmac_f32_e32 v21, 0x3f3504f3, v33
	;; [unrolled: 1-line block ×4, first 2 shown]
	s_wait_alu 0xfffe
	s_xor_b32 exec_lo, exec_lo, s0
	s_cbranch_execz .LBB0_9
; %bb.8:
	v_fma_f32 v15, v15, 2.0, -v39
	v_fma_f32 v40, v32, 2.0, -v38
	;; [unrolled: 1-line block ×6, first 2 shown]
	v_fmamk_f32 v32, v40, 0xbec3ef15, v15
	v_fma_f32 v7, v7, 2.0, -v35
	v_fma_f32 v24, v24, 2.0, -v34
	v_fmamk_f32 v42, v31, 0xbec3ef15, v10
	v_fma_f32 v12, v12, 2.0, -v33
	v_fma_f32 v1, v1, 2.0, -v11
	;; [unrolled: 1-line block ×3, first 2 shown]
	v_fmamk_f32 v43, v31, 0x3f6c835e, v32
	v_fma_f32 v33, v27, 2.0, -v18
	v_fmac_f32_e32 v42, 0xbf6c835e, v40
	v_fma_f32 v26, v26, 2.0, -v29
	v_fma_f32 v13, v13, 2.0, -v28
	;; [unrolled: 1-line block ×5, first 2 shown]
	v_fmamk_f32 v40, v12, 0xbf3504f3, v1
	v_fmamk_f32 v31, v24, 0xbf3504f3, v7
	v_fma_f32 v32, v9, 2.0, -v17
	v_fmamk_f32 v4, v26, 0xbf6c835e, v15
	v_fmamk_f32 v6, v13, 0xbf6c835e, v27
	v_fmac_f32_e32 v40, 0xbf3504f3, v24
	v_fmamk_f32 v41, v12, 0x3f3504f3, v31
	v_fma_f32 v9, v5, 2.0, -v14
	s_delay_alu instid0(VALU_DEP_4) | instskip(SKIP_1) | instid1(VALU_DEP_4)
	v_dual_sub_f32 v5, v2, v8 :: v_dual_fmac_f32 v6, 0xbec3ef15, v26
	v_mov_b32_e32 v56, 0
	v_fma_f32 v45, v7, 2.0, -v41
	s_delay_alu instid0(VALU_DEP_4) | instskip(NEXT) | instid1(VALU_DEP_4)
	v_dual_fmamk_f32 v7, v13, 0x3ec3ef15, v4 :: v_dual_sub_f32 v4, v0, v9
	v_fma_f32 v14, v27, 2.0, -v6
	v_fma_f32 v13, v2, 2.0, -v5
	;; [unrolled: 1-line block ×3, first 2 shown]
	s_delay_alu instid0(VALU_DEP_4)
	v_fma_f32 v15, v15, 2.0, -v7
	v_fma_f32 v12, v0, 2.0, -v4
	v_lshlrev_b32_e32 v0, 7, v114
	v_fma_f32 v44, v1, 2.0, -v40
	v_fma_f32 v34, v30, 2.0, -v19
	;; [unrolled: 1-line block ×7, first 2 shown]
	ds_store_b128 v0, v[12:15]
	ds_store_b128 v0, v[44:47] offset:16
	ds_store_b128 v0, v[31:34] offset:32
	;; [unrolled: 1-line block ×7, first 2 shown]
.LBB0_9:
	s_or_b32 exec_lo, exec_lo, s0
	v_and_b32_e32 v49, 15, v114
	v_add_co_u32 v76, s0, 0x144, v114
	s_load_b128 s[4:7], s[4:5], 0x0
	global_wb scope:SCOPE_SE
	s_wait_dscnt 0x0
	v_lshlrev_b32_e32 v0, 4, v49
	s_wait_kmcnt 0x0
	s_barrier_signal -1
	s_barrier_wait -1
	global_inv scope:SCOPE_SE
	v_add_co_u32 v75, null, 0x288, v114
	global_load_b128 v[0:3], v0, s[10:11]
	v_and_b32_e32 v50, 15, v76
	v_add_co_u32 v74, null, 0x3cc, v114
	v_lshrrev_b32_e32 v24, 4, v114
	v_lshrrev_b32_e32 v54, 4, v76
	s_delay_alu instid0(VALU_DEP_4)
	v_lshlrev_b32_e32 v4, 4, v50
	v_lshrrev_b32_e32 v55, 4, v75
	v_lshrrev_b32_e32 v58, 4, v74
	v_mul_u32_u24_e32 v53, 48, v24
	v_add_co_ci_u32_e64 v57, null, 0, 0, s0
	global_load_b128 v[12:15], v4, s[10:11]
	v_and_b32_e32 v51, 15, v75
	v_and_b32_e32 v52, 15, v74
	s_delay_alu instid0(VALU_DEP_2) | instskip(NEXT) | instid1(VALU_DEP_2)
	v_lshlrev_b32_e32 v5, 4, v51
	v_lshlrev_b32_e32 v4, 4, v52
	s_clause 0x1
	global_load_b128 v[8:11], v5, s[10:11]
	global_load_b128 v[4:7], v4, s[10:11]
	v_and_b32_e32 v40, 0xffff, v114
	s_delay_alu instid0(VALU_DEP_1)
	v_lshlrev_b32_e32 v115, 3, v40
	ds_load_b64 v[24:25], v115
	ds_load_b64 v[26:27], v115 offset:2592
	ds_load_b64 v[28:29], v115 offset:5184
	;; [unrolled: 1-line block ×11, first 2 shown]
	v_and_b32_e32 v61, 0xffff, v75
	v_and_b32_e32 v60, 0xffff, v76
	;; [unrolled: 1-line block ×3, first 2 shown]
	global_wb scope:SCOPE_SE
	s_wait_loadcnt_dscnt 0x0
	s_barrier_signal -1
	s_barrier_wait -1
	global_inv scope:SCOPE_SE
	v_mul_f32_e32 v68, v33, v1
	v_or_b32_e32 v49, v53, v49
	v_mul_u32_u24_e32 v53, 48, v54
	v_mul_u32_u24_e32 v54, 48, v55
	v_mul_u32_u24_e32 v55, 48, v58
	v_dual_mul_f32 v69, v32, v1 :: v_dual_mul_f32 v70, v42, v3
	v_mul_f32_e32 v71, v41, v3
	v_lshlrev_b32_e32 v119, 3, v49
	v_or_b32_e32 v49, v53, v50
	s_delay_alu instid0(VALU_DEP_4)
	v_fmac_f32_e32 v69, v33, v0
	v_fma_f32 v33, v41, v2, -v70
	v_fmac_f32_e32 v71, v42, v2
	v_mul_f32_e32 v41, v35, v13
	v_mul_f32_e32 v42, v34, v13
	v_or_b32_e32 v50, v54, v51
	v_or_b32_e32 v51, v55, v52
	v_lshlrev_b32_e32 v120, 3, v49
	v_fma_f32 v32, v32, v0, -v68
	v_mul_f32_e32 v68, v44, v15
	v_fma_f32 v34, v34, v12, -v41
	v_dual_fmac_f32 v42, v35, v12 :: v_dual_lshlrev_b32 v117, 3, v51
	v_mul_f32_e32 v73, v36, v9
	v_mul_u32_u24_e32 v59, 0xaaab, v40
	v_mul_f32_e32 v80, v38, v5
	v_mul_u32_u24_e32 v63, 0xaaab, v61
	v_mul_f32_e32 v77, v46, v11
	v_mul_f32_e32 v79, v39, v5
	v_lshrrev_b32_e32 v58, 21, v59
	v_mul_u32_u24_e32 v59, 0xaaab, v60
	v_mul_u32_u24_e32 v64, 0xaaab, v62
	v_lshrrev_b32_e32 v54, 21, v63
	v_dual_fmac_f32 v73, v37, v8 :: v_dual_lshlrev_b32 v118, 3, v50
	v_mul_lo_u16 v52, v58, 48
	v_lshrrev_b32_e32 v53, 21, v59
	v_lshrrev_b32_e32 v55, 21, v64
	v_dual_mul_f32 v72, v37, v9 :: v_dual_mul_f32 v81, v48, v7
	s_delay_alu instid0(VALU_DEP_4)
	v_sub_nc_u16 v59, v114, v52
	v_mul_lo_u16 v52, v54, 48
	v_mul_lo_u16 v49, v53, 48
	;; [unrolled: 1-line block ×3, first 2 shown]
	v_mul_f32_e32 v70, v43, v15
	v_lshlrev_b16 v50, 4, v59
	v_sub_nc_u16 v65, v75, v52
	v_sub_nc_u16 v64, v76, v49
	;; [unrolled: 1-line block ×3, first 2 shown]
	s_delay_alu instid0(VALU_DEP_4) | instskip(NEXT) | instid1(VALU_DEP_4)
	v_dual_mul_f32 v78, v45, v11 :: v_dual_and_b32 v49, 0xffff, v50
	v_lshlrev_b16 v52, 4, v65
	s_delay_alu instid0(VALU_DEP_4) | instskip(NEXT) | instid1(VALU_DEP_4)
	v_lshlrev_b16 v51, 4, v64
	v_lshlrev_b16 v66, 4, v63
	v_mul_f32_e32 v82, v47, v7
	v_fma_f32 v41, v43, v14, -v68
	v_and_b32_e32 v67, 0xffff, v52
	v_dual_fmac_f32 v70, v44, v14 :: v_dual_and_b32 v51, 0xffff, v51
	v_dual_add_f32 v37, v24, v32 :: v_dual_and_b32 v66, 0xffff, v66
	v_fma_f32 v35, v36, v8, -v72
	v_fma_f32 v43, v45, v10, -v77
	v_fmac_f32_e32 v78, v46, v10
	v_fma_f32 v36, v38, v4, -v79
	v_add_f32_e32 v45, v25, v69
	v_add_f32_e32 v46, v69, v71
	;; [unrolled: 1-line block ×3, first 2 shown]
	v_fmac_f32_e32 v80, v39, v4
	v_fma_f32 v44, v47, v6, -v81
	v_sub_f32_e32 v47, v32, v33
	v_fmac_f32_e32 v82, v48, v6
	v_add_f32_e32 v32, v37, v33
	v_add_f32_e32 v33, v45, v71
	v_sub_f32_e32 v45, v42, v70
	v_add_f32_e32 v37, v26, v34
	v_fmac_f32_e32 v25, -0.5, v46
	v_fma_f32 v24, -0.5, v38, v24
	v_add_f32_e32 v38, v34, v41
	v_dual_add_f32 v46, v27, v42 :: v_dual_add_f32 v79, v30, v36
	v_dual_add_f32 v42, v42, v70 :: v_dual_sub_f32 v77, v35, v43
	v_dual_sub_f32 v39, v69, v71 :: v_dual_sub_f32 v48, v34, v41
	v_dual_sub_f32 v71, v73, v78 :: v_dual_add_f32 v68, v28, v35
	v_dual_add_f32 v69, v35, v43 :: v_dual_add_f32 v72, v29, v73
	v_add_f32_e32 v81, v36, v44
	v_add_f32_e32 v73, v73, v78
	v_dual_sub_f32 v83, v80, v82 :: v_dual_add_f32 v84, v31, v80
	v_dual_add_f32 v80, v80, v82 :: v_dual_fmamk_f32 v35, v47, 0xbf5db3d7, v25
	v_fma_f32 v26, -0.5, v38, v26
	v_dual_fmac_f32 v27, -0.5, v42 :: v_dual_add_f32 v38, v68, v43
	v_fma_f32 v28, -0.5, v69, v28
	v_dual_fmac_f32 v29, -0.5, v73 :: v_dual_add_f32 v42, v84, v82
	v_dual_sub_f32 v85, v36, v44 :: v_dual_fmamk_f32 v34, v39, 0x3f5db3d7, v24
	v_fma_f32 v30, -0.5, v81, v30
	v_fmac_f32_e32 v31, -0.5, v80
	v_add_co_u32 v49, s0, s10, v49
	v_fmac_f32_e32 v24, 0xbf5db3d7, v39
	v_dual_fmac_f32 v25, 0x3f5db3d7, v47 :: v_dual_add_f32 v36, v37, v41
	v_add_f32_e32 v37, v46, v70
	v_dual_add_f32 v41, v79, v44 :: v_dual_fmamk_f32 v44, v48, 0xbf5db3d7, v27
	v_fmamk_f32 v43, v45, 0x3f5db3d7, v26
	s_wait_alu 0xf1ff
	v_add_co_ci_u32_e64 v50, null, s11, 0, s0
	v_add_co_u32 v51, s0, s10, v51
	v_dual_add_f32 v39, v72, v78 :: v_dual_fmac_f32 v26, 0xbf5db3d7, v45
	v_fmac_f32_e32 v27, 0x3f5db3d7, v48
	v_fmamk_f32 v45, v71, 0x3f5db3d7, v28
	v_fmamk_f32 v46, v77, 0xbf5db3d7, v29
	s_wait_alu 0xf1ff
	v_add_co_ci_u32_e64 v52, null, s11, 0, s0
	v_fmac_f32_e32 v28, 0xbf5db3d7, v71
	v_fmac_f32_e32 v29, 0x3f5db3d7, v77
	v_fmamk_f32 v47, v83, 0x3f5db3d7, v30
	v_fmac_f32_e32 v30, 0xbf5db3d7, v83
	v_fmamk_f32 v48, v85, 0xbf5db3d7, v31
	v_fmac_f32_e32 v31, 0x3f5db3d7, v85
	ds_store_2addr_b64 v119, v[32:33], v[34:35] offset1:16
	ds_store_b64 v119, v[24:25] offset:256
	ds_store_2addr_b64 v120, v[36:37], v[43:44] offset1:16
	ds_store_b64 v120, v[26:27] offset:256
	;; [unrolled: 2-line block ×4, first 2 shown]
	v_add_co_u32 v24, s0, s10, v67
	s_wait_alu 0xf1ff
	v_add_co_ci_u32_e64 v25, null, s11, 0, s0
	v_add_co_u32 v26, s0, s10, v66
	global_wb scope:SCOPE_SE
	s_wait_dscnt 0x0
	s_barrier_signal -1
	s_barrier_wait -1
	global_inv scope:SCOPE_SE
	s_clause 0x1
	global_load_b128 v[36:39], v[49:50], off offset:256
	global_load_b128 v[32:35], v[51:52], off offset:256
	s_wait_alu 0xf1ff
	v_add_co_ci_u32_e64 v27, null, s11, 0, s0
	s_clause 0x1
	global_load_b128 v[28:31], v[24:25], off offset:256
	global_load_b128 v[24:27], v[26:27], off offset:256
	v_mul_u32_u24_e32 v40, 0xe38f, v40
	v_mul_u32_u24_e32 v41, 0xe38f, v61
	;; [unrolled: 1-line block ×3, first 2 shown]
	s_delay_alu instid0(VALU_DEP_3) | instskip(SKIP_1) | instid1(VALU_DEP_4)
	v_lshrrev_b32_e32 v70, 23, v40
	v_mul_u32_u24_e32 v40, 0xe38f, v60
	v_lshrrev_b32_e32 v79, 23, v41
	s_delay_alu instid0(VALU_DEP_4) | instskip(NEXT) | instid1(VALU_DEP_4)
	v_lshrrev_b32_e32 v80, 23, v42
	v_mul_lo_u16 v43, 0x90, v70
	s_delay_alu instid0(VALU_DEP_4) | instskip(NEXT) | instid1(VALU_DEP_4)
	v_lshrrev_b32_e32 v71, 23, v40
	v_mul_lo_u16 v41, 0x90, v79
	s_delay_alu instid0(VALU_DEP_4) | instskip(NEXT) | instid1(VALU_DEP_4)
	v_mul_lo_u16 v42, 0x90, v80
	v_sub_nc_u16 v81, v114, v43
	s_delay_alu instid0(VALU_DEP_4)
	v_mul_lo_u16 v40, 0x90, v71
	v_mad_u16 v43, 0x90, v58, v59
	v_sub_nc_u16 v83, v75, v41
	v_sub_nc_u16 v84, v74, v42
	v_lshlrev_b16 v44, 4, v81
	v_sub_nc_u16 v82, v76, v40
	v_and_b32_e32 v40, 0xffff, v43
	v_mad_u16 v41, 0x90, v53, v64
	v_mad_u16 v42, 0x90, v54, v65
	;; [unrolled: 1-line block ×3, first 2 shown]
	v_and_b32_e32 v44, 0xffff, v44
	v_lshlrev_b16 v45, 4, v82
	v_lshlrev_b16 v46, 4, v83
	;; [unrolled: 1-line block ×3, first 2 shown]
	v_and_b32_e32 v48, 0xffff, v41
	v_and_b32_e32 v42, 0xffff, v42
	;; [unrolled: 1-line block ×3, first 2 shown]
	v_lshlrev_b32_e32 v123, 3, v40
	v_add_co_u32 v40, s0, s10, v44
	v_and_b32_e32 v50, 0xffff, v45
	v_and_b32_e32 v72, 0xffff, v46
	v_and_b32_e32 v73, 0xffff, v47
	v_lshlrev_b32_e32 v124, 3, v48
	v_lshlrev_b32_e32 v122, 3, v42
	;; [unrolled: 1-line block ×3, first 2 shown]
	ds_load_b64 v[42:43], v115 offset:10368
	ds_load_b64 v[44:45], v115 offset:12960
	;; [unrolled: 1-line block ×8, first 2 shown]
	ds_load_b64 v[62:63], v115
	ds_load_b64 v[64:65], v115 offset:2592
	ds_load_b64 v[66:67], v115 offset:5184
	;; [unrolled: 1-line block ×3, first 2 shown]
	s_wait_alu 0xf1ff
	v_add_co_ci_u32_e64 v41, null, s11, 0, s0
	global_wb scope:SCOPE_SE
	s_wait_loadcnt_dscnt 0x0
	s_barrier_signal -1
	s_barrier_wait -1
	global_inv scope:SCOPE_SE
	v_mul_f32_e32 v77, v43, v37
	v_dual_mul_f32 v78, v42, v37 :: v_dual_mul_f32 v85, v47, v39
	v_dual_mul_f32 v86, v46, v39 :: v_dual_mul_f32 v87, v45, v33
	v_mul_f32_e32 v88, v44, v33
	v_dual_mul_f32 v96, v54, v25 :: v_dual_mul_f32 v89, v49, v35
	v_mul_f32_e32 v90, v48, v35
	v_dual_mul_f32 v92, v52, v29 :: v_dual_mul_f32 v97, v61, v27
	v_fmac_f32_e32 v78, v43, v36
	v_mul_f32_e32 v94, v58, v31
	v_fma_f32 v42, v42, v36, -v77
	v_fma_f32 v43, v46, v38, -v85
	v_mul_f32_e32 v91, v53, v29
	v_mul_f32_e32 v93, v59, v31
	;; [unrolled: 1-line block ×3, first 2 shown]
	v_fmac_f32_e32 v86, v47, v38
	v_fma_f32 v44, v44, v32, -v87
	v_fmac_f32_e32 v88, v45, v32
	v_fma_f32 v45, v48, v34, -v89
	v_fmac_f32_e32 v90, v49, v34
	v_fmac_f32_e32 v96, v55, v24
	v_add_f32_e32 v55, v63, v78
	s_delay_alu instid0(VALU_DEP_4)
	v_dual_fmac_f32 v94, v59, v30 :: v_dual_sub_f32 v87, v44, v45
	v_dual_sub_f32 v59, v42, v43 :: v_dual_fmac_f32 v92, v53, v28
	v_mul_f32_e32 v98, v60, v27
	v_fma_f32 v46, v52, v28, -v91
	v_fma_f32 v47, v58, v30, -v93
	;; [unrolled: 1-line block ×3, first 2 shown]
	s_delay_alu instid0(VALU_DEP_4)
	v_dual_add_f32 v93, v67, v92 :: v_dual_fmac_f32 v98, v61, v26
	v_add_f32_e32 v52, v62, v42
	v_add_f32_e32 v53, v42, v43
	;; [unrolled: 1-line block ×4, first 2 shown]
	v_dual_add_f32 v58, v78, v86 :: v_dual_add_f32 v101, v69, v96
	v_fma_f32 v49, v60, v26, -v97
	v_add_f32_e32 v97, v68, v48
	s_delay_alu instid0(VALU_DEP_3) | instskip(NEXT) | instid1(VALU_DEP_3)
	v_dual_add_f32 v42, v52, v43 :: v_dual_fmac_f32 v63, -0.5, v58
	v_dual_sub_f32 v54, v78, v86 :: v_dual_add_f32 v99, v48, v49
	v_dual_sub_f32 v77, v88, v90 :: v_dual_add_f32 v78, v65, v88
	v_sub_f32_e32 v91, v92, v94
	v_dual_add_f32 v89, v46, v47 :: v_dual_sub_f32 v100, v96, v98
	v_add_f32_e32 v96, v96, v98
	v_fma_f32 v62, -0.5, v53, v62
	v_dual_fmamk_f32 v53, v59, 0xbf5db3d7, v63 :: v_dual_add_f32 v92, v92, v94
	v_dual_add_f32 v60, v64, v44 :: v_dual_sub_f32 v95, v46, v47
	v_dual_add_f32 v88, v66, v46 :: v_dual_fmac_f32 v65, -0.5, v85
	v_fma_f32 v64, -0.5, v61, v64
	v_add_co_u32 v50, s0, s10, v50
	v_fma_f32 v66, -0.5, v89, v66
	v_fmac_f32_e32 v69, -0.5, v96
	v_fmac_f32_e32 v67, -0.5, v92
	s_wait_alu 0xf1ff
	v_add_co_ci_u32_e64 v51, null, s11, 0, s0
	v_dual_sub_f32 v102, v48, v49 :: v_dual_add_f32 v43, v55, v86
	v_dual_add_f32 v48, v97, v49 :: v_dual_fmac_f32 v63, 0x3f5db3d7, v59
	v_fma_f32 v68, -0.5, v99, v68
	v_dual_add_f32 v49, v101, v98 :: v_dual_fmamk_f32 v52, v54, 0x3f5db3d7, v62
	v_dual_fmac_f32 v62, 0xbf5db3d7, v54 :: v_dual_fmamk_f32 v55, v87, 0xbf5db3d7, v65
	v_dual_add_f32 v44, v60, v45 :: v_dual_add_f32 v45, v78, v90
	v_dual_fmamk_f32 v54, v77, 0x3f5db3d7, v64 :: v_dual_fmac_f32 v65, 0x3f5db3d7, v87
	v_dual_fmac_f32 v64, 0xbf5db3d7, v77 :: v_dual_fmamk_f32 v59, v95, 0xbf5db3d7, v67
	v_dual_add_f32 v46, v88, v47 :: v_dual_add_f32 v47, v93, v94
	v_dual_fmamk_f32 v58, v91, 0x3f5db3d7, v66 :: v_dual_fmac_f32 v67, 0x3f5db3d7, v95
	v_dual_fmac_f32 v66, 0xbf5db3d7, v91 :: v_dual_fmamk_f32 v61, v102, 0xbf5db3d7, v69
	v_dual_fmamk_f32 v60, v100, 0x3f5db3d7, v68 :: v_dual_fmac_f32 v69, 0x3f5db3d7, v102
	v_fmac_f32_e32 v68, 0xbf5db3d7, v100
	ds_store_2addr_b64 v123, v[42:43], v[52:53] offset1:48
	ds_store_b64 v123, v[62:63] offset:768
	ds_store_2addr_b64 v124, v[44:45], v[54:55] offset1:48
	ds_store_b64 v124, v[64:65] offset:768
	;; [unrolled: 2-line block ×4, first 2 shown]
	global_wb scope:SCOPE_SE
	s_wait_dscnt 0x0
	s_barrier_signal -1
	s_barrier_wait -1
	global_inv scope:SCOPE_SE
	s_clause 0x1
	global_load_b128 v[52:55], v[40:41], off offset:1024
	global_load_b128 v[48:51], v[50:51], off offset:1024
	v_add_co_u32 v40, s0, s10, v72
	s_wait_alu 0xf1ff
	v_add_co_ci_u32_e64 v41, null, s11, 0, s0
	v_add_co_u32 v42, s0, s10, v73
	s_wait_alu 0xf1ff
	v_add_co_ci_u32_e64 v43, null, s11, 0, s0
	s_clause 0x1
	global_load_b128 v[44:47], v[40:41], off offset:1024
	global_load_b128 v[40:43], v[42:43], off offset:1024
	v_add_co_u32 v58, s0, 0xffffff94, v114
	s_wait_alu 0xf1ff
	v_add_co_ci_u32_e64 v59, null, 0, -1, s0
	v_cmp_gt_u16_e64 s0, 0x6c, v114
	v_lshrrev_b16 v60, 4, v75
	v_lshrrev_b16 v61, 4, v74
	v_mad_u16 v62, 0x1b0, v79, v83
	v_mad_u16 v63, 0x1b0, v80, v84
	s_wait_alu 0xf1ff
	v_cndmask_b32_e64 v78, v59, v57, s0
	v_and_b32_e32 v59, 0xffff, v60
	v_cndmask_b32_e64 v77, v58, v76, s0
	v_and_b32_e32 v60, 0xffff, v61
	v_add_co_u32 v72, s0, s10, v116
	s_delay_alu instid0(VALU_DEP_4) | instskip(NEXT) | instid1(VALU_DEP_4)
	v_mul_u32_u24_e32 v59, 0x12f7, v59
	v_lshlrev_b64_e32 v[57:58], 4, v[77:78]
	s_delay_alu instid0(VALU_DEP_4)
	v_mul_u32_u24_e32 v60, 0x12f7, v60
	s_wait_alu 0xf1ff
	v_add_co_ci_u32_e64 v73, s0, s11, v56, s0
	v_lshrrev_b32_e32 v88, 17, v59
	v_mad_u16 v61, 0x1b0, v71, v82
	v_add_co_u32 v56, s0, s10, v57
	v_lshrrev_b32_e32 v59, 17, v60
	s_wait_alu 0xf1ff
	v_add_co_ci_u32_e64 v57, s0, s11, v58, s0
	v_mul_lo_u16 v58, 0x1b0, v88
	v_mad_u16 v60, 0x1b0, v70, v81
	v_mul_lo_u16 v59, 0x1b0, v59
	s_delay_alu instid0(VALU_DEP_3) | instskip(SKIP_1) | instid1(VALU_DEP_3)
	v_sub_nc_u16 v89, v75, v58
	v_and_b32_e32 v58, 0xffff, v61
	v_sub_nc_u16 v90, v74, v59
	s_delay_alu instid0(VALU_DEP_3) | instskip(NEXT) | instid1(VALU_DEP_3)
	v_lshlrev_b16 v64, 4, v89
	v_lshlrev_b32_e32 v127, 3, v58
	ds_load_b64 v[58:59], v115 offset:10368
	v_and_b32_e32 v60, 0xffff, v60
	v_lshlrev_b16 v66, 4, v90
	v_and_b32_e32 v91, 0xffff, v64
	ds_load_b64 v[64:65], v115 offset:23328
	v_lshlrev_b32_e32 v128, 3, v60
	v_and_b32_e32 v60, 0xffff, v62
	v_and_b32_e32 v62, 0xffff, v63
	;; [unrolled: 1-line block ×3, first 2 shown]
	s_delay_alu instid0(VALU_DEP_3)
	v_lshlrev_b32_e32 v126, 3, v60
	ds_load_b64 v[60:61], v115 offset:20736
	v_lshlrev_b32_e32 v125, 3, v62
	ds_load_b64 v[62:63], v115 offset:12960
	ds_load_b64 v[66:67], v115 offset:15552
	ds_load_b64 v[68:69], v115 offset:18144
	ds_load_b64 v[70:71], v115 offset:25920
	ds_load_b64 v[78:79], v115 offset:28512
	ds_load_b64 v[80:81], v115
	ds_load_b64 v[82:83], v115 offset:2592
	ds_load_b64 v[84:85], v115 offset:5184
	;; [unrolled: 1-line block ×3, first 2 shown]
	global_wb scope:SCOPE_SE
	s_wait_loadcnt_dscnt 0x0
	s_barrier_signal -1
	s_barrier_wait -1
	global_inv scope:SCOPE_SE
	v_dual_mul_f32 v96, v60, v55 :: v_dual_mul_f32 v93, v59, v53
	v_dual_mul_f32 v94, v58, v53 :: v_dual_mul_f32 v95, v61, v55
	v_mul_f32_e32 v97, v63, v49
	v_dual_mul_f32 v98, v62, v49 :: v_dual_mul_f32 v99, v65, v51
	s_delay_alu instid0(VALU_DEP_4) | instskip(NEXT) | instid1(VALU_DEP_4)
	v_fma_f32 v58, v58, v52, -v93
	v_fmac_f32_e32 v94, v59, v52
	v_fma_f32 v59, v60, v54, -v95
	v_fma_f32 v60, v62, v48, -v97
	v_mul_f32_e32 v101, v67, v45
	v_mul_f32_e32 v103, v71, v47
	;; [unrolled: 1-line block ×3, first 2 shown]
	v_dual_mul_f32 v106, v68, v41 :: v_dual_mul_f32 v107, v79, v43
	s_delay_alu instid0(VALU_DEP_4)
	v_fma_f32 v62, v66, v44, -v101
	v_fmac_f32_e32 v98, v63, v48
	v_fmac_f32_e32 v96, v61, v54
	v_fma_f32 v61, v64, v50, -v99
	v_mul_f32_e32 v104, v70, v47
	v_mul_f32_e32 v108, v78, v43
	v_fma_f32 v63, v70, v46, -v103
	s_delay_alu instid0(VALU_DEP_2) | instskip(SKIP_1) | instid1(VALU_DEP_3)
	v_dual_sub_f32 v97, v60, v61 :: v_dual_fmac_f32 v108, v79, v42
	v_add_f32_e32 v79, v60, v61
	v_dual_add_f32 v99, v62, v63 :: v_dual_fmac_f32 v104, v71, v46
	v_sub_f32_e32 v71, v58, v59
	v_mul_f32_e32 v100, v64, v51
	v_fma_f32 v64, v68, v40, -v105
	v_fmac_f32_e32 v106, v69, v40
	v_dual_mul_f32 v102, v66, v45 :: v_dual_add_f32 v69, v81, v94
	v_sub_f32_e32 v105, v62, v63
	s_delay_alu instid0(VALU_DEP_3) | instskip(NEXT) | instid1(VALU_DEP_3)
	v_add_f32_e32 v111, v87, v106
	v_fmac_f32_e32 v102, v67, v44
	v_fmac_f32_e32 v100, v65, v50
	v_fma_f32 v65, v78, v42, -v107
	v_add_f32_e32 v67, v58, v59
	v_add_f32_e32 v107, v86, v64
	v_sub_f32_e32 v101, v102, v104
	v_sub_f32_e32 v93, v98, v100
	v_dual_add_f32 v70, v94, v96 :: v_dual_sub_f32 v129, v64, v65
	v_add_f32_e32 v78, v82, v60
	v_dual_add_f32 v95, v98, v100 :: v_dual_add_f32 v66, v80, v58
	s_delay_alu instid0(VALU_DEP_3)
	v_dual_fmac_f32 v81, -0.5, v70 :: v_dual_sub_f32 v68, v94, v96
	v_add_f32_e32 v103, v85, v102
	v_dual_add_f32 v109, v64, v65 :: v_dual_sub_f32 v110, v106, v108
	v_add_f32_e32 v106, v106, v108
	v_fma_f32 v80, -0.5, v67, v80
	v_dual_fmamk_f32 v67, v71, 0xbf5db3d7, v81 :: v_dual_add_f32 v102, v102, v104
	v_dual_add_f32 v94, v83, v98 :: v_dual_fmac_f32 v83, -0.5, v95
	v_add_f32_e32 v98, v84, v62
	v_fma_f32 v82, -0.5, v79, v82
	v_fma_f32 v84, -0.5, v99, v84
	v_fmac_f32_e32 v87, -0.5, v106
	v_dual_fmac_f32 v85, -0.5, v102 :: v_dual_add_f32 v58, v66, v59
	v_add_f32_e32 v59, v69, v96
	v_fma_f32 v86, -0.5, v109, v86
	v_fmamk_f32 v66, v68, 0x3f5db3d7, v80
	v_dual_add_f32 v64, v107, v65 :: v_dual_fmac_f32 v81, 0x3f5db3d7, v71
	v_dual_fmac_f32 v80, 0xbf5db3d7, v68 :: v_dual_fmamk_f32 v71, v105, 0xbf5db3d7, v85
	v_dual_add_f32 v60, v78, v61 :: v_dual_add_f32 v65, v111, v108
	v_add_f32_e32 v61, v94, v100
	v_dual_add_f32 v62, v98, v63 :: v_dual_fmamk_f32 v69, v97, 0xbf5db3d7, v83
	v_dual_fmamk_f32 v68, v93, 0x3f5db3d7, v82 :: v_dual_fmac_f32 v85, 0x3f5db3d7, v105
	v_dual_fmac_f32 v82, 0xbf5db3d7, v93 :: v_dual_fmamk_f32 v79, v129, 0xbf5db3d7, v87
	v_fmac_f32_e32 v83, 0x3f5db3d7, v97
	v_dual_add_f32 v63, v103, v104 :: v_dual_fmamk_f32 v70, v101, 0x3f5db3d7, v84
	v_fmac_f32_e32 v87, 0x3f5db3d7, v129
	v_fmac_f32_e32 v84, 0xbf5db3d7, v101
	v_fmamk_f32 v78, v110, 0x3f5db3d7, v86
	v_fmac_f32_e32 v86, 0xbf5db3d7, v110
	ds_store_2addr_b64 v128, v[58:59], v[66:67] offset1:144
	ds_store_b64 v128, v[80:81] offset:2304
	ds_store_2addr_b64 v127, v[60:61], v[68:69] offset1:144
	ds_store_b64 v127, v[82:83] offset:2304
	;; [unrolled: 2-line block ×4, first 2 shown]
	global_wb scope:SCOPE_SE
	s_wait_dscnt 0x0
	s_barrier_signal -1
	s_barrier_wait -1
	global_inv scope:SCOPE_SE
	s_clause 0x1
	global_load_b128 v[68:71], v[72:73], off offset:3328
	global_load_b128 v[64:67], v[56:57], off offset:3328
	v_add_co_u32 v58, s0, s10, v91
	s_wait_alu 0xf1ff
	v_add_co_ci_u32_e64 v59, null, s11, 0, s0
	v_add_co_u32 v56, s0, s10, v92
	s_wait_alu 0xf1ff
	v_add_co_ci_u32_e64 v57, null, s11, 0, s0
	s_clause 0x1
	global_load_b128 v[60:63], v[58:59], off offset:3328
	global_load_b128 v[56:59], v[56:57], off offset:3328
	v_cmp_lt_u16_e64 s0, 0x6b, v114
	v_mad_u16 v80, 0x510, v88, v89
	ds_load_b64 v[78:79], v115 offset:10368
	v_and_b32_e32 v83, 0xffff, v90
	v_lshlrev_b32_e32 v100, 4, v76
	s_wait_alu 0xf1ff
	v_cndmask_b32_e64 v82, 0, 0x510, s0
	v_and_b32_e32 v84, 0xffff, v80
	ds_load_b64 v[80:81], v115 offset:20736
	v_lshlrev_b32_e32 v129, 3, v83
	v_add_lshl_u32 v131, v77, v82, 3
	ds_load_b64 v[82:83], v115 offset:23328
	ds_load_b64 v[76:77], v115 offset:12960
	s_wait_loadcnt_dscnt 0x303
	v_mul_f32_e32 v101, v79, v69
	s_wait_loadcnt_dscnt 0x201
	v_dual_mul_f32 v107, v83, v67 :: v_dual_lshlrev_b32 v130, 3, v84
	ds_load_b64 v[84:85], v115 offset:15552
	ds_load_b64 v[86:87], v115 offset:18144
	;; [unrolled: 1-line block ×4, first 2 shown]
	ds_load_b64 v[92:93], v115
	ds_load_b64 v[94:95], v115 offset:2592
	ds_load_b64 v[96:97], v115 offset:5184
	;; [unrolled: 1-line block ×3, first 2 shown]
	v_dual_mul_f32 v102, v78, v69 :: v_dual_mul_f32 v103, v81, v71
	s_wait_dscnt 0x8
	v_dual_mul_f32 v105, v77, v65 :: v_dual_mul_f32 v104, v80, v71
	v_mul_f32_e32 v106, v76, v65
	v_fma_f32 v78, v78, v68, -v101
	v_fmac_f32_e32 v102, v79, v68
	v_fma_f32 v79, v80, v70, -v103
	v_fma_f32 v76, v76, v64, -v105
	;; [unrolled: 1-line block ×3, first 2 shown]
	global_wb scope:SCOPE_SE
	s_wait_loadcnt_dscnt 0x0
	s_barrier_signal -1
	v_mul_f32_e32 v110, v84, v61
	v_mul_f32_e32 v133, v87, v57
	v_add_f32_e32 v103, v76, v80
	v_mul_f32_e32 v135, v91, v59
	v_mul_f32_e32 v136, v90, v59
	v_fmac_f32_e32 v110, v85, v60
	v_mul_f32_e32 v109, v85, v61
	v_mul_f32_e32 v111, v89, v63
	v_fmac_f32_e32 v106, v77, v64
	v_dual_fmac_f32 v136, v91, v58 :: v_dual_sub_f32 v91, v78, v79
	v_dual_mul_f32 v108, v82, v67 :: v_dual_add_f32 v85, v93, v102
	v_sub_f32_e32 v105, v76, v80
	v_fma_f32 v77, v84, v60, -v109
	v_fma_f32 v82, v88, v62, -v111
	s_delay_alu instid0(VALU_DEP_4)
	v_fmac_f32_e32 v108, v83, v66
	v_fmac_f32_e32 v104, v81, v70
	v_fma_f32 v81, v86, v56, -v133
	v_fma_f32 v83, v90, v58, -v135
	v_add_f32_e32 v111, v77, v82
	v_sub_f32_e32 v133, v77, v82
	s_barrier_wait -1
	v_add_f32_e32 v135, v98, v81
	v_dual_sub_f32 v101, v106, v108 :: v_dual_mul_f32 v132, v88, v63
	v_mul_f32_e32 v134, v86, v57
	v_dual_add_f32 v88, v102, v104 :: v_dual_add_f32 v137, v81, v83
	v_add_f32_e32 v86, v78, v79
	global_inv scope:SCOPE_SE
	v_fmac_f32_e32 v134, v87, v56
	v_dual_sub_f32 v87, v102, v104 :: v_dual_fmac_f32 v132, v89, v62
	v_fmac_f32_e32 v93, -0.5, v88
	v_add_f32_e32 v89, v95, v106
	s_delay_alu instid0(VALU_DEP_4) | instskip(NEXT) | instid1(VALU_DEP_4)
	v_add_f32_e32 v139, v99, v134
	v_dual_add_f32 v84, v92, v78 :: v_dual_add_f32 v109, v110, v132
	v_add_f32_e32 v102, v106, v108
	v_sub_f32_e32 v107, v110, v132
	v_sub_f32_e32 v138, v134, v136
	v_add_f32_e32 v134, v134, v136
	v_fma_f32 v92, -0.5, v86, v92
	v_dual_add_f32 v106, v97, v110 :: v_dual_fmac_f32 v97, -0.5, v109
	v_dual_add_f32 v90, v94, v76 :: v_dual_fmac_f32 v95, -0.5, v102
	v_dual_add_f32 v110, v96, v77 :: v_dual_add_f32 v77, v85, v104
	v_fma_f32 v94, -0.5, v103, v94
	v_sub_f32_e32 v140, v81, v83
	v_dual_add_f32 v76, v84, v79 :: v_dual_add_f32 v79, v89, v108
	v_fma_f32 v96, -0.5, v111, v96
	v_fma_f32 v98, -0.5, v137, v98
	v_fmamk_f32 v85, v91, 0xbf5db3d7, v93
	v_dual_fmac_f32 v99, -0.5, v134 :: v_dual_fmamk_f32 v84, v87, 0x3f5db3d7, v92
	v_dual_add_f32 v78, v90, v80 :: v_dual_fmac_f32 v93, 0x3f5db3d7, v91
	v_dual_fmac_f32 v92, 0xbf5db3d7, v87 :: v_dual_fmamk_f32 v89, v133, 0xbf5db3d7, v97
	v_dual_add_f32 v80, v110, v82 :: v_dual_fmamk_f32 v87, v105, 0xbf5db3d7, v95
	v_dual_add_f32 v82, v135, v83 :: v_dual_fmac_f32 v95, 0x3f5db3d7, v105
	v_add_f32_e32 v83, v139, v136
	v_dual_add_f32 v81, v106, v132 :: v_dual_fmamk_f32 v86, v101, 0x3f5db3d7, v94
	v_dual_fmac_f32 v94, 0xbf5db3d7, v101 :: v_dual_fmamk_f32 v91, v140, 0xbf5db3d7, v99
	v_fmamk_f32 v88, v107, 0x3f5db3d7, v96
	v_fmac_f32_e32 v96, 0xbf5db3d7, v107
	v_dual_fmac_f32 v97, 0x3f5db3d7, v133 :: v_dual_fmamk_f32 v90, v138, 0x3f5db3d7, v98
	v_fmac_f32_e32 v98, 0xbf5db3d7, v138
	v_fmac_f32_e32 v99, 0x3f5db3d7, v140
	ds_store_b64 v115, v[76:77]
	ds_store_b64 v115, v[84:85] offset:3456
	ds_store_b64 v115, v[92:93] offset:6912
	ds_store_b64 v131, v[78:79]
	ds_store_b64 v131, v[86:87] offset:3456
	ds_store_b64 v131, v[94:95] offset:6912
	ds_store_b64 v130, v[80:81]
	ds_store_b64 v130, v[88:89] offset:3456
	ds_store_b64 v130, v[96:97] offset:6912
	ds_store_b64 v129, v[82:83] offset:20736
	ds_store_b64 v129, v[90:91] offset:24192
	ds_store_b64 v129, v[98:99] offset:27648
	global_wb scope:SCOPE_SE
	s_wait_dscnt 0x0
	s_barrier_signal -1
	s_barrier_wait -1
	global_inv scope:SCOPE_SE
	s_clause 0x1
	global_load_b128 v[84:87], v[72:73], off offset:10240
	global_load_b128 v[80:83], v100, s[10:11] offset:10240
	v_lshlrev_b32_e32 v72, 4, v75
	v_lshlrev_b32_e32 v73, 4, v74
	s_clause 0x1
	global_load_b128 v[76:79], v72, s[10:11] offset:10240
	global_load_b128 v[72:75], v73, s[10:11] offset:10240
	ds_load_b64 v[88:89], v115 offset:10368
	ds_load_b64 v[94:95], v115 offset:20736
	;; [unrolled: 1-line block ×8, first 2 shown]
	ds_load_b64 v[92:93], v115
	ds_load_b64 v[90:91], v115 offset:2592
	ds_load_b64 v[96:97], v115 offset:5184
	;; [unrolled: 1-line block ×3, first 2 shown]
	s_wait_loadcnt_dscnt 0x30b
	v_mul_f32_e32 v132, v89, v85
	s_wait_dscnt 0xa
	v_dual_mul_f32 v133, v88, v85 :: v_dual_mul_f32 v134, v95, v87
	s_wait_loadcnt_dscnt 0x209
	v_dual_mul_f32 v135, v94, v87 :: v_dual_mul_f32 v136, v99, v81
	s_wait_dscnt 0x8
	v_dual_mul_f32 v137, v98, v81 :: v_dual_mul_f32 v138, v101, v83
	s_wait_loadcnt_dscnt 0x5
	v_mul_f32_e32 v145, v108, v73
	v_dual_mul_f32 v139, v100, v83 :: v_dual_mul_f32 v140, v103, v77
	v_fmac_f32_e32 v133, v89, v84
	v_dual_mul_f32 v141, v102, v77 :: v_dual_mul_f32 v142, v105, v79
	v_fmac_f32_e32 v135, v95, v86
	;; [unrolled: 2-line block ×3, first 2 shown]
	s_wait_dscnt 0x4
	v_dual_mul_f32 v146, v111, v75 :: v_dual_fmac_f32 v139, v101, v82
	v_mul_f32_e32 v147, v110, v75
	v_fma_f32 v88, v88, v84, -v132
	v_fma_f32 v89, v94, v86, -v134
	v_fma_f32 v94, v98, v80, -v136
	v_fma_f32 v98, v100, v82, -v138
	v_fma_f32 v95, v102, v76, -v140
	v_fmac_f32_e32 v141, v103, v76
	v_fma_f32 v99, v104, v78, -v142
	v_add_f32_e32 v104, v133, v135
	v_fmac_f32_e32 v143, v105, v78
	v_fma_f32 v100, v108, v72, -v144
	v_fmac_f32_e32 v145, v109, v72
	v_fma_f32 v102, v110, v74, -v146
	v_dual_fmac_f32 v147, v111, v74 :: v_dual_add_f32 v132, v137, v139
	s_wait_dscnt 0x2
	v_dual_sub_f32 v103, v133, v135 :: v_dual_add_f32 v108, v91, v137
	v_dual_add_f32 v101, v93, v133 :: v_dual_sub_f32 v134, v94, v98
	v_add_f32_e32 v110, v88, v89
	v_dual_add_f32 v105, v92, v88 :: v_dual_sub_f32 v136, v141, v143
	v_dual_sub_f32 v88, v88, v89 :: v_dual_sub_f32 v111, v137, v139
	s_wait_dscnt 0x0
	v_dual_add_f32 v144, v107, v145 :: v_dual_add_f32 v109, v90, v94
	v_dual_add_f32 v138, v141, v143 :: v_dual_add_f32 v133, v94, v98
	;; [unrolled: 1-line block ×3, first 2 shown]
	v_sub_f32_e32 v142, v95, v99
	v_dual_add_f32 v141, v95, v99 :: v_dual_add_f32 v148, v106, v100
	v_dual_sub_f32 v146, v145, v147 :: v_dual_add_f32 v149, v100, v102
	v_dual_add_f32 v145, v145, v147 :: v_dual_sub_f32 v150, v100, v102
	v_dual_add_f32 v100, v105, v89 :: v_dual_add_f32 v95, v108, v139
	v_dual_add_f32 v108, v140, v99 :: v_dual_fmac_f32 v93, -0.5, v104
	v_fma_f32 v92, -0.5, v110, v92
	v_fma_f32 v90, -0.5, v133, v90
	v_fmac_f32_e32 v91, -0.5, v132
	v_fma_f32 v96, -0.5, v141, v96
	v_fmac_f32_e32 v97, -0.5, v138
	;; [unrolled: 2-line block ×3, first 2 shown]
	v_add_f32_e32 v101, v101, v135
	v_dual_add_f32 v94, v109, v98 :: v_dual_add_f32 v99, v144, v147
	v_dual_add_f32 v109, v137, v143 :: v_dual_add_f32 v98, v148, v102
	v_fmamk_f32 v102, v103, 0x3f5db3d7, v92
	v_dual_fmac_f32 v92, 0xbf5db3d7, v103 :: v_dual_fmamk_f32 v103, v88, 0xbf5db3d7, v93
	v_dual_fmac_f32 v93, 0x3f5db3d7, v88 :: v_dual_fmamk_f32 v110, v136, 0x3f5db3d7, v96
	v_fmamk_f32 v88, v111, 0x3f5db3d7, v90
	v_dual_fmac_f32 v90, 0xbf5db3d7, v111 :: v_dual_fmamk_f32 v89, v134, 0xbf5db3d7, v91
	v_dual_fmac_f32 v91, 0x3f5db3d7, v134 :: v_dual_fmamk_f32 v104, v146, 0x3f5db3d7, v106
	v_dual_fmac_f32 v96, 0xbf5db3d7, v136 :: v_dual_fmamk_f32 v111, v142, 0xbf5db3d7, v97
	v_fmac_f32_e32 v97, 0x3f5db3d7, v142
	v_dual_fmac_f32 v106, 0xbf5db3d7, v146 :: v_dual_fmamk_f32 v105, v150, 0xbf5db3d7, v107
	v_fmac_f32_e32 v107, 0x3f5db3d7, v150
	ds_store_b64 v115, v[100:101]
	ds_store_b64 v115, v[94:95] offset:2592
	ds_store_b64 v115, v[108:109] offset:5184
	;; [unrolled: 1-line block ×11, first 2 shown]
	global_wb scope:SCOPE_SE
	s_wait_dscnt 0x0
	s_barrier_signal -1
	s_barrier_wait -1
	global_inv scope:SCOPE_SE
	s_and_saveexec_b32 s2, vcc_lo
	s_cbranch_execz .LBB0_11
; %bb.10:
	global_load_b64 v[132:133], v113, s[8:9] offset:31104
	s_add_nc_u64 s[0:1], s[8:9], 0x7980
	s_clause 0xe
	global_load_b64 v[136:137], v113, s[0:1] offset:1944
	global_load_b64 v[138:139], v113, s[0:1] offset:3888
	global_load_b64 v[140:141], v113, s[0:1] offset:5832
	global_load_b64 v[142:143], v113, s[0:1] offset:7776
	global_load_b64 v[144:145], v113, s[0:1] offset:9720
	global_load_b64 v[146:147], v113, s[0:1] offset:11664
	global_load_b64 v[148:149], v113, s[0:1] offset:13608
	global_load_b64 v[150:151], v113, s[0:1] offset:15552
	global_load_b64 v[152:153], v113, s[0:1] offset:17496
	global_load_b64 v[154:155], v113, s[0:1] offset:19440
	global_load_b64 v[156:157], v113, s[0:1] offset:21384
	global_load_b64 v[158:159], v113, s[0:1] offset:23328
	global_load_b64 v[160:161], v113, s[0:1] offset:25272
	global_load_b64 v[162:163], v113, s[0:1] offset:27216
	global_load_b64 v[164:165], v113, s[0:1] offset:29160
	ds_load_b64 v[134:135], v115
	v_add_nc_u32_e32 v170, 0x780, v113
	s_wait_loadcnt_dscnt 0xf00
	v_mul_f32_e32 v166, v135, v133
	v_mul_f32_e32 v167, v134, v133
	s_delay_alu instid0(VALU_DEP_2) | instskip(NEXT) | instid1(VALU_DEP_2)
	v_fma_f32 v166, v134, v132, -v166
	v_fmac_f32_e32 v167, v135, v132
	ds_store_b64 v115, v[166:167]
	ds_load_2addr_b64 v[132:135], v170 offset0:3 offset1:246
	ds_load_b64 v[166:167], v113 offset:5832
	s_wait_loadcnt_dscnt 0xd01
	v_dual_mul_f32 v168, v133, v137 :: v_dual_mul_f32 v171, v135, v139
	v_mul_f32_e32 v169, v132, v137
	s_wait_loadcnt_dscnt 0xc00
	v_dual_mul_f32 v137, v134, v139 :: v_dual_mul_f32 v172, v167, v141
	v_mul_f32_e32 v139, v166, v141
	v_fma_f32 v168, v132, v136, -v168
	v_fmac_f32_e32 v169, v133, v136
	v_fma_f32 v136, v134, v138, -v171
	v_fmac_f32_e32 v137, v135, v138
	v_fma_f32 v138, v166, v140, -v172
	v_dual_fmac_f32 v139, v167, v140 :: v_dual_add_nc_u32 v166, 0x25c0, v113
	ds_store_2addr_b64 v170, v[168:169], v[136:137] offset0:3 offset1:246
	ds_store_b64 v113, v[138:139] offset:5832
	ds_load_b64 v[132:133], v115 offset:7776
	s_wait_loadcnt_dscnt 0xb00
	v_mul_f32_e32 v134, v133, v143
	v_mul_f32_e32 v135, v132, v143
	s_delay_alu instid0(VALU_DEP_2) | instskip(NEXT) | instid1(VALU_DEP_2)
	v_fma_f32 v134, v132, v142, -v134
	v_fmac_f32_e32 v135, v133, v142
	ds_store_b64 v115, v[134:135] offset:7776
	ds_load_2addr_b64 v[132:135], v166 offset0:7 offset1:250
	ds_load_b64 v[136:137], v113 offset:13608
	s_wait_loadcnt_dscnt 0xa01
	v_mul_f32_e32 v138, v133, v145
	s_wait_loadcnt 0x9
	v_dual_mul_f32 v139, v132, v145 :: v_dual_mul_f32 v140, v135, v147
	s_wait_loadcnt_dscnt 0x800
	v_dual_mul_f32 v141, v134, v147 :: v_dual_mul_f32 v142, v137, v149
	v_mul_f32_e32 v143, v136, v149
	v_fma_f32 v138, v132, v144, -v138
	v_fmac_f32_e32 v139, v133, v144
	v_fma_f32 v140, v134, v146, -v140
	v_fmac_f32_e32 v141, v135, v146
	;; [unrolled: 2-line block ×3, first 2 shown]
	ds_store_2addr_b64 v166, v[138:139], v[140:141] offset0:7 offset1:250
	ds_store_b64 v113, v[142:143] offset:13608
	ds_load_b64 v[132:133], v115 offset:15552
	v_add_nc_u32_e32 v144, 0x4400, v113
	s_wait_loadcnt_dscnt 0x700
	v_mul_f32_e32 v134, v133, v151
	v_mul_f32_e32 v135, v132, v151
	s_delay_alu instid0(VALU_DEP_2) | instskip(NEXT) | instid1(VALU_DEP_2)
	v_fma_f32 v134, v132, v150, -v134
	v_fmac_f32_e32 v135, v133, v150
	ds_store_b64 v115, v[134:135] offset:15552
	ds_load_2addr_b64 v[132:135], v144 offset0:11 offset1:254
	ds_load_b64 v[136:137], v113 offset:21384
	s_wait_loadcnt_dscnt 0x601
	v_mul_f32_e32 v138, v133, v153
	s_wait_loadcnt 0x5
	v_dual_mul_f32 v139, v132, v153 :: v_dual_mul_f32 v140, v135, v155
	s_wait_loadcnt_dscnt 0x400
	v_dual_mul_f32 v141, v134, v155 :: v_dual_mul_f32 v142, v137, v157
	v_mul_f32_e32 v143, v136, v157
	v_fma_f32 v138, v132, v152, -v138
	v_fmac_f32_e32 v139, v133, v152
	v_fma_f32 v140, v134, v154, -v140
	v_fmac_f32_e32 v141, v135, v154
	;; [unrolled: 2-line block ×3, first 2 shown]
	ds_store_2addr_b64 v144, v[138:139], v[140:141] offset0:11 offset1:254
	ds_store_b64 v113, v[142:143] offset:21384
	ds_load_b64 v[132:133], v115 offset:23328
	v_add_nc_u32_e32 v144, 0x6280, v113
	s_wait_loadcnt_dscnt 0x300
	v_mul_f32_e32 v134, v133, v159
	v_mul_f32_e32 v135, v132, v159
	s_delay_alu instid0(VALU_DEP_2) | instskip(NEXT) | instid1(VALU_DEP_2)
	v_fma_f32 v134, v132, v158, -v134
	v_fmac_f32_e32 v135, v133, v158
	ds_store_b64 v115, v[134:135] offset:23328
	ds_load_2addr_b64 v[132:135], v144 offset0:7 offset1:250
	ds_load_b64 v[136:137], v113 offset:29160
	s_wait_loadcnt_dscnt 0x201
	v_mul_f32_e32 v138, v133, v161
	s_wait_loadcnt_dscnt 0x0
	v_mul_f32_e32 v142, v137, v165
	v_dual_mul_f32 v139, v132, v161 :: v_dual_mul_f32 v140, v135, v163
	v_mul_f32_e32 v141, v134, v163
	v_mul_f32_e32 v143, v136, v165
	v_fma_f32 v138, v132, v160, -v138
	s_delay_alu instid0(VALU_DEP_4)
	v_fmac_f32_e32 v139, v133, v160
	v_fma_f32 v140, v134, v162, -v140
	v_fmac_f32_e32 v141, v135, v162
	v_fma_f32 v142, v136, v164, -v142
	v_fmac_f32_e32 v143, v137, v164
	ds_store_2addr_b64 v144, v[138:139], v[140:141] offset0:7 offset1:250
	ds_store_b64 v113, v[142:143] offset:29160
.LBB0_11:
	s_wait_alu 0xfffe
	s_or_b32 exec_lo, exec_lo, s2
	global_wb scope:SCOPE_SE
	s_wait_dscnt 0x0
	s_barrier_signal -1
	s_barrier_wait -1
	global_inv scope:SCOPE_SE
	s_and_saveexec_b32 s0, vcc_lo
	s_cbranch_execz .LBB0_13
; %bb.12:
	v_add_nc_u32_e32 v16, 0xf00, v115
	v_add_nc_u32_e32 v17, 0x1e00, v115
	v_add_nc_u32_e32 v18, 0x2d80, v115
	ds_load_2addr_b64 v[100:103], v115 offset1:243
	v_add_nc_u32_e32 v19, 0x5b00, v115
	ds_load_2addr_b64 v[92:95], v16 offset0:6 offset1:249
	ds_load_2addr_b64 v[88:91], v17 offset0:12 offset1:255
	v_add_nc_u32_e32 v16, 0x3c80, v115
	v_add_nc_u32_e32 v17, 0x4bc0, v115
	;; [unrolled: 1-line block ×3, first 2 shown]
	ds_load_2addr_b64 v[108:111], v18 offset0:2 offset1:245
	ds_load_2addr_b64 v[96:99], v16 offset0:8 offset1:251
	;; [unrolled: 1-line block ×5, first 2 shown]
.LBB0_13:
	s_wait_alu 0xfffe
	s_or_b32 exec_lo, exec_lo, s0
	global_wb scope:SCOPE_SE
	s_wait_dscnt 0x0
	s_barrier_signal -1
	s_barrier_wait -1
	global_inv scope:SCOPE_SE
	s_and_saveexec_b32 s0, vcc_lo
	s_cbranch_execz .LBB0_15
; %bb.14:
	v_dual_sub_f32 v105, v93, v105 :: v_dual_sub_f32 v20, v108, v20
	v_dual_sub_f32 v97, v101, v97 :: v_dual_sub_f32 v16, v88, v16
	;; [unrolled: 1-line block ×3, first 2 shown]
	s_delay_alu instid0(VALU_DEP_3) | instskip(NEXT) | instid1(VALU_DEP_3)
	v_dual_sub_f32 v99, v103, v99 :: v_dual_sub_f32 v132, v105, v20
	v_dual_sub_f32 v18, v90, v18 :: v_dual_sub_f32 v133, v97, v16
	v_dual_sub_f32 v21, v109, v21 :: v_dual_sub_f32 v104, v92, v104
	s_delay_alu instid0(VALU_DEP_4) | instskip(NEXT) | instid1(VALU_DEP_3)
	v_sub_f32_e32 v134, v107, v22
	v_sub_f32_e32 v135, v99, v18
	v_dual_sub_f32 v23, v111, v23 :: v_dual_sub_f32 v106, v94, v106
	s_delay_alu instid0(VALU_DEP_4) | instskip(NEXT) | instid1(VALU_DEP_3)
	v_dual_fmamk_f32 v137, v132, 0x3f3504f3, v133 :: v_dual_add_f32 v138, v21, v104
	v_dual_sub_f32 v136, v91, v19 :: v_dual_fmamk_f32 v139, v134, 0x3f3504f3, v135
	s_delay_alu instid0(VALU_DEP_3) | instskip(NEXT) | instid1(VALU_DEP_3)
	v_dual_add_f32 v140, v23, v106 :: v_dual_sub_f32 v17, v89, v17
	v_dual_fmac_f32 v137, 0xbf3504f3, v138 :: v_dual_sub_f32 v96, v100, v96
	s_delay_alu instid0(VALU_DEP_2) | instskip(SKIP_2) | instid1(VALU_DEP_4)
	v_dual_sub_f32 v98, v102, v98 :: v_dual_fmac_f32 v139, 0xbf3504f3, v140
	v_fma_f32 v103, v103, 2.0, -v99
	v_fma_f32 v22, v110, 2.0, -v22
	v_add_f32_e32 v143, v17, v96
	v_fma_f32 v17, v89, 2.0, -v17
	v_fma_f32 v89, v91, 2.0, -v136
	;; [unrolled: 1-line block ×4, first 2 shown]
	v_fmamk_f32 v19, v139, 0x3f6c835e, v137
	v_fma_f32 v92, v92, 2.0, -v104
	v_dual_sub_f32 v110, v103, v89 :: v_dual_add_f32 v141, v136, v98
	v_fmamk_f32 v144, v138, 0x3f3504f3, v143
	v_fma_f32 v20, v108, 2.0, -v20
	v_dual_sub_f32 v89, v94, v22 :: v_dual_sub_f32 v108, v101, v17
	s_delay_alu instid0(VALU_DEP_4) | instskip(SKIP_1) | instid1(VALU_DEP_3)
	v_fmamk_f32 v142, v140, 0x3f3504f3, v141
	v_fma_f32 v17, v111, 2.0, -v23
	v_dual_sub_f32 v20, v92, v20 :: v_dual_sub_f32 v111, v110, v89
	v_fma_f32 v136, v95, 2.0, -v107
	s_delay_alu instid0(VALU_DEP_4)
	v_fmac_f32_e32 v142, 0x3f3504f3, v134
	v_fma_f32 v95, v102, 2.0, -v98
	v_fma_f32 v22, v90, 2.0, -v18
	;; [unrolled: 1-line block ×4, first 2 shown]
	v_dual_fmac_f32 v19, 0xbec3ef15, v142 :: v_dual_sub_f32 v102, v108, v20
	v_fma_f32 v100, v100, 2.0, -v96
	v_fma_f32 v90, v104, 2.0, -v138
	s_delay_alu instid0(VALU_DEP_4)
	v_sub_f32_e32 v21, v93, v21
	v_fma_f32 v104, v99, 2.0, -v135
	v_fma_f32 v91, v107, 2.0, -v134
	;; [unrolled: 1-line block ×3, first 2 shown]
	v_dual_fmac_f32 v144, 0x3f3504f3, v132 :: v_dual_sub_f32 v145, v136, v17
	v_fmamk_f32 v17, v111, 0x3f3504f3, v102
	v_fma_f32 v147, v97, 2.0, -v133
	s_delay_alu instid0(VALU_DEP_4)
	v_sub_f32_e32 v138, v100, v16
	v_fma_f32 v97, v106, 2.0, -v140
	v_fmamk_f32 v107, v91, 0xbf3504f3, v104
	v_sub_f32_e32 v146, v95, v22
	v_fma_f32 v22, v105, 2.0, -v132
	v_fma_f32 v105, v98, 2.0, -v141
	;; [unrolled: 1-line block ×6, first 2 shown]
	v_fmamk_f32 v132, v97, 0xbf3504f3, v105
	v_fmac_f32_e32 v107, 0xbf3504f3, v97
	v_dual_fmamk_f32 v18, v142, 0x3f6c835e, v144 :: v_dual_add_f32 v109, v145, v146
	v_add_f32_e32 v140, v21, v138
	v_fma_f32 v21, v93, 2.0, -v21
	v_fma_f32 v149, v95, 2.0, -v146
	s_delay_alu instid0(VALU_DEP_4)
	v_fmac_f32_e32 v18, 0x3ec3ef15, v139
	v_fma_f32 v96, v96, 2.0, -v143
	v_fmamk_f32 v16, v109, 0x3f3504f3, v140
	v_dual_sub_f32 v150, v148, v21 :: v_dual_fmamk_f32 v99, v133, 0xbec3ef15, v101
	v_sub_f32_e32 v151, v149, v88
	v_fma_f32 v100, v100, 2.0, -v138
	v_fma_f32 v20, v92, 2.0, -v20
	;; [unrolled: 1-line block ×7, first 2 shown]
	v_fmamk_f32 v106, v22, 0xbf3504f3, v147
	v_dual_fmamk_f32 v134, v90, 0xbf3504f3, v96 :: v_dual_fmac_f32 v17, 0xbf3504f3, v109
	v_fmac_f32_e32 v16, 0x3f3504f3, v111
	v_dual_sub_f32 v20, v100, v20 :: v_dual_fmac_f32 v99, 0xbf6c835e, v93
	v_sub_f32_e32 v111, v92, v88
	v_fmamk_f32 v97, v110, 0xbf3504f3, v108
	v_fma_f32 v109, v146, 2.0, -v109
	v_fmac_f32_e32 v134, 0x3f3504f3, v22
	v_fma_f32 v103, v101, 2.0, -v99
	v_add_f32_e32 v88, v111, v20
	v_fma_f32 v92, v92, 2.0, -v111
	v_dual_fmac_f32 v97, 0xbf3504f3, v109 :: v_dual_fmac_f32 v106, 0xbf3504f3, v90
	v_sub_f32_e32 v89, v150, v151
	v_fma_f32 v135, v143, 2.0, -v144
	v_fma_f32 v104, v104, 2.0, -v107
	s_delay_alu instid0(VALU_DEP_4)
	v_fma_f32 v101, v108, 2.0, -v97
	v_fma_f32 v108, v148, 2.0, -v150
	v_fmac_f32_e32 v132, 0x3f3504f3, v91
	v_fmamk_f32 v91, v107, 0x3ec3ef15, v106
	v_fmamk_f32 v98, v93, 0xbec3ef15, v135
	v_fma_f32 v100, v100, 2.0, -v20
	v_fma_f32 v111, v149, 2.0, -v151
	v_fmamk_f32 v90, v132, 0x3ec3ef15, v134
	v_fma_f32 v105, v105, 2.0, -v132
	v_fmac_f32_e32 v91, 0xbf6c835e, v132
	v_fmac_f32_e32 v98, 0x3f6c835e, v133
	v_fma_f32 v133, v147, 2.0, -v106
	v_fmac_f32_e32 v90, 0x3f6c835e, v107
	v_fma_f32 v132, v96, 2.0, -v134
	v_fma_f32 v95, v106, 2.0, -v91
	s_delay_alu instid0(VALU_DEP_4) | instskip(NEXT) | instid1(VALU_DEP_4)
	v_dual_fmamk_f32 v107, v104, 0xbf6c835e, v133 :: v_dual_lshlrev_b32 v116, 3, v116
	v_fma_f32 v94, v134, 2.0, -v90
	v_fma_f32 v134, v138, 2.0, -v140
	v_fmamk_f32 v106, v105, 0xbf6c835e, v132
	v_fma_f32 v21, v102, 2.0, -v17
	v_fmac_f32_e32 v107, 0xbec3ef15, v105
	s_delay_alu instid0(VALU_DEP_4) | instskip(NEXT) | instid1(VALU_DEP_4)
	v_dual_sub_f32 v105, v108, v92 :: v_dual_fmamk_f32 v96, v109, 0xbf3504f3, v134
	v_fmac_f32_e32 v106, 0x3ec3ef15, v104
	v_sub_f32_e32 v104, v100, v111
	s_delay_alu instid0(VALU_DEP_4) | instskip(NEXT) | instid1(VALU_DEP_4)
	v_fma_f32 v111, v133, 2.0, -v107
	v_fma_f32 v109, v108, 2.0, -v105
	v_fmac_f32_e32 v96, 0x3f3504f3, v110
	v_fma_f32 v110, v132, 2.0, -v106
	v_fma_f32 v108, v100, 2.0, -v104
	;; [unrolled: 1-line block ×9, first 2 shown]
	ds_store_b128 v116, v[108:111]
	ds_store_b128 v116, v[100:103] offset:16
	ds_store_b128 v116, v[92:95] offset:32
	;; [unrolled: 1-line block ×7, first 2 shown]
.LBB0_15:
	s_wait_alu 0xfffe
	s_or_b32 exec_lo, exec_lo, s0
	global_wb scope:SCOPE_SE
	s_wait_dscnt 0x0
	s_barrier_signal -1
	s_barrier_wait -1
	global_inv scope:SCOPE_SE
	ds_load_b64 v[16:17], v115 offset:10368
	ds_load_b64 v[18:19], v115 offset:20736
	;; [unrolled: 1-line block ×5, first 2 shown]
	ds_load_b64 v[90:91], v115
	ds_load_b64 v[92:93], v115 offset:2592
	ds_load_b64 v[94:95], v115 offset:5184
	;; [unrolled: 1-line block ×6, first 2 shown]
	global_wb scope:SCOPE_SE
	s_wait_dscnt 0x0
	s_barrier_signal -1
	s_barrier_wait -1
	global_inv scope:SCOPE_SE
	v_dual_mul_f32 v104, v1, v17 :: v_dual_mul_f32 v105, v3, v19
	v_mul_f32_e32 v1, v1, v16
	v_dual_mul_f32 v3, v3, v18 :: v_dual_mul_f32 v106, v13, v21
	v_mul_f32_e32 v13, v13, v20
	s_delay_alu instid0(VALU_DEP_4)
	v_dual_fmac_f32 v104, v0, v16 :: v_dual_fmac_f32 v105, v2, v18
	v_mul_f32_e32 v16, v15, v23
	v_fma_f32 v1, v0, v17, -v1
	v_mul_f32_e32 v0, v15, v22
	v_fma_f32 v3, v2, v19, -v3
	v_fmac_f32_e32 v106, v12, v20
	v_fma_f32 v12, v12, v21, -v13
	v_mul_f32_e32 v13, v9, v89
	v_mul_f32_e32 v15, v5, v99
	;; [unrolled: 1-line block ×3, first 2 shown]
	v_fma_f32 v9, v14, v23, -v0
	v_mul_f32_e32 v0, v11, v100
	v_dual_fmac_f32 v16, v14, v22 :: v_dual_fmac_f32 v13, v8, v88
	v_mul_f32_e32 v14, v11, v101
	v_mul_f32_e32 v18, v7, v103
	s_delay_alu instid0(VALU_DEP_4)
	v_fma_f32 v17, v10, v101, -v0
	v_fmac_f32_e32 v15, v4, v98
	v_fma_f32 v11, v8, v89, -v2
	v_mul_f32_e32 v2, v5, v98
	v_mul_f32_e32 v0, v7, v102
	v_dual_fmac_f32 v18, v6, v102 :: v_dual_add_f32 v5, v1, v3
	v_dual_add_f32 v7, v12, v9 :: v_dual_fmac_f32 v14, v10, v100
	s_delay_alu instid0(VALU_DEP_3)
	v_fma_f32 v20, v6, v103, -v0
	v_dual_sub_f32 v6, v1, v3 :: v_dual_add_f32 v1, v91, v1
	v_fma_f32 v19, v4, v99, -v2
	v_add_f32_e32 v4, v90, v104
	v_dual_add_f32 v8, v93, v12 :: v_dual_fmac_f32 v93, -0.5, v7
	v_dual_sub_f32 v10, v106, v16 :: v_dual_fmac_f32 v91, -0.5, v5
	s_delay_alu instid0(VALU_DEP_3) | instskip(SKIP_1) | instid1(VALU_DEP_3)
	v_add_f32_e32 v0, v4, v105
	v_dual_sub_f32 v4, v104, v105 :: v_dual_add_f32 v1, v1, v3
	v_dual_fmamk_f32 v7, v10, 0x3f5db3d7, v93 :: v_dual_add_f32 v2, v104, v105
	v_add_f32_e32 v5, v106, v16
	s_delay_alu instid0(VALU_DEP_3) | instskip(SKIP_1) | instid1(VALU_DEP_4)
	v_fmamk_f32 v3, v4, 0x3f5db3d7, v91
	v_fmac_f32_e32 v91, 0xbf5db3d7, v4
	v_fma_f32 v90, -0.5, v2, v90
	s_delay_alu instid0(VALU_DEP_1)
	v_fmamk_f32 v2, v6, 0xbf5db3d7, v90
	v_fmac_f32_e32 v90, 0x3f5db3d7, v6
	v_add_f32_e32 v6, v92, v106
	v_fma_f32 v92, -0.5, v5, v92
	v_sub_f32_e32 v5, v12, v9
	v_sub_f32_e32 v12, v11, v17
	s_delay_alu instid0(VALU_DEP_4) | instskip(NEXT) | instid1(VALU_DEP_3)
	v_add_f32_e32 v4, v6, v16
	v_fmamk_f32 v6, v5, 0xbf5db3d7, v92
	v_fmac_f32_e32 v92, 0x3f5db3d7, v5
	v_dual_add_f32 v5, v8, v9 :: v_dual_add_f32 v8, v13, v14
	v_add_f32_e32 v9, v94, v13
	v_sub_f32_e32 v13, v13, v14
	v_dual_fmac_f32 v93, 0xbf5db3d7, v10 :: v_dual_add_f32 v10, v11, v17
	s_delay_alu instid0(VALU_DEP_4) | instskip(NEXT) | instid1(VALU_DEP_4)
	v_fma_f32 v94, -0.5, v8, v94
	v_dual_add_f32 v8, v9, v14 :: v_dual_add_f32 v9, v95, v11
	s_delay_alu instid0(VALU_DEP_1) | instskip(SKIP_2) | instid1(VALU_DEP_1)
	v_dual_add_f32 v14, v96, v15 :: v_dual_add_f32 v9, v9, v17
	v_add_f32_e32 v17, v97, v19
	v_fmac_f32_e32 v95, -0.5, v10
	v_fmamk_f32 v11, v13, 0x3f5db3d7, v95
	v_fmac_f32_e32 v95, 0xbf5db3d7, v13
	v_add_f32_e32 v13, v19, v20
	s_delay_alu instid0(VALU_DEP_1) | instskip(SKIP_4) | instid1(VALU_DEP_4)
	v_dual_fmac_f32 v97, -0.5, v13 :: v_dual_sub_f32 v16, v19, v20
	v_sub_f32_e32 v19, v15, v18
	v_dual_add_f32 v13, v17, v20 :: v_dual_fmamk_f32 v10, v12, 0xbf5db3d7, v94
	v_fmac_f32_e32 v94, 0x3f5db3d7, v12
	v_add_f32_e32 v12, v15, v18
	v_fmamk_f32 v15, v19, 0x3f5db3d7, v97
	v_fmac_f32_e32 v97, 0xbf5db3d7, v19
	s_delay_alu instid0(VALU_DEP_3) | instskip(SKIP_1) | instid1(VALU_DEP_2)
	v_fma_f32 v96, -0.5, v12, v96
	v_add_f32_e32 v12, v14, v18
	v_fmamk_f32 v14, v16, 0xbf5db3d7, v96
	v_fmac_f32_e32 v96, 0x3f5db3d7, v16
	ds_store_2addr_b64 v119, v[0:1], v[2:3] offset1:16
	ds_store_b64 v119, v[90:91] offset:256
	ds_store_2addr_b64 v120, v[4:5], v[6:7] offset1:16
	ds_store_b64 v120, v[92:93] offset:256
	;; [unrolled: 2-line block ×4, first 2 shown]
	global_wb scope:SCOPE_SE
	s_wait_dscnt 0x0
	s_barrier_signal -1
	s_barrier_wait -1
	global_inv scope:SCOPE_SE
	ds_load_b64 v[0:1], v115 offset:10368
	ds_load_b64 v[2:3], v115 offset:20736
	;; [unrolled: 1-line block ×7, first 2 shown]
	ds_load_b64 v[14:15], v115
	ds_load_b64 v[16:17], v115 offset:2592
	ds_load_b64 v[18:19], v115 offset:5184
	;; [unrolled: 1-line block ×4, first 2 shown]
	global_wb scope:SCOPE_SE
	s_wait_dscnt 0x0
	s_barrier_signal -1
	s_barrier_wait -1
	global_inv scope:SCOPE_SE
	v_mul_f32_e32 v88, v37, v1
	v_mul_f32_e32 v37, v37, v0
	s_delay_alu instid0(VALU_DEP_2) | instskip(SKIP_1) | instid1(VALU_DEP_3)
	v_dual_mul_f32 v89, v39, v3 :: v_dual_fmac_f32 v88, v36, v0
	v_mul_f32_e32 v0, v39, v2
	v_fma_f32 v1, v36, v1, -v37
	s_delay_alu instid0(VALU_DEP_3) | instskip(SKIP_1) | instid1(VALU_DEP_2)
	v_dual_mul_f32 v36, v33, v5 :: v_dual_fmac_f32 v89, v38, v2
	v_dual_mul_f32 v2, v33, v4 :: v_dual_mul_f32 v33, v35, v7
	v_fmac_f32_e32 v36, v32, v4
	s_delay_alu instid0(VALU_DEP_2) | instskip(SKIP_3) | instid1(VALU_DEP_2)
	v_fma_f32 v5, v32, v5, -v2
	v_mul_f32_e32 v32, v29, v11
	v_dual_mul_f32 v2, v29, v10 :: v_dual_mul_f32 v29, v31, v9
	v_fmac_f32_e32 v33, v34, v6
	v_fmac_f32_e32 v29, v30, v8
	v_fma_f32 v3, v38, v3, -v0
	v_mul_f32_e32 v0, v35, v6
	s_delay_alu instid0(VALU_DEP_2) | instskip(NEXT) | instid1(VALU_DEP_2)
	v_add_f32_e32 v6, v1, v3
	v_fma_f32 v7, v34, v7, -v0
	v_mul_f32_e32 v0, v31, v8
	v_dual_sub_f32 v8, v1, v3 :: v_dual_add_f32 v1, v15, v1
	s_delay_alu instid0(VALU_DEP_4)
	v_fmac_f32_e32 v15, -0.5, v6
	v_fmac_f32_e32 v32, v28, v10
	v_fma_f32 v10, v28, v11, -v2
	v_mul_f32_e32 v2, v25, v12
	v_add_f32_e32 v11, v5, v7
	v_dual_mul_f32 v28, v25, v13 :: v_dual_mul_f32 v25, v27, v23
	v_fma_f32 v9, v30, v9, -v0
	v_mul_f32_e32 v0, v27, v22
	v_dual_add_f32 v6, v36, v33 :: v_dual_add_f32 v1, v1, v3
	s_delay_alu instid0(VALU_DEP_4)
	v_dual_fmac_f32 v25, v26, v22 :: v_dual_sub_f32 v22, v5, v7
	v_add_f32_e32 v5, v17, v5
	v_dual_fmac_f32 v17, -0.5, v11 :: v_dual_fmac_f32 v28, v24, v12
	v_fma_f32 v12, v24, v13, -v2
	v_add_f32_e32 v2, v88, v89
	v_add_f32_e32 v4, v14, v88
	v_fma_f32 v13, v26, v23, -v0
	v_add_f32_e32 v23, v10, v9
	v_add_f32_e32 v27, v21, v12
	v_fma_f32 v14, -0.5, v2, v14
	v_add_f32_e32 v0, v4, v89
	v_dual_sub_f32 v4, v88, v89 :: v_dual_add_f32 v5, v5, v7
	v_add_f32_e32 v24, v20, v28
	s_delay_alu instid0(VALU_DEP_4) | instskip(SKIP_1) | instid1(VALU_DEP_4)
	v_fmamk_f32 v2, v8, 0xbf5db3d7, v14
	v_sub_f32_e32 v26, v12, v13
	v_fmamk_f32 v3, v4, 0x3f5db3d7, v15
	v_fmac_f32_e32 v15, 0xbf5db3d7, v4
	v_fmac_f32_e32 v14, 0x3f5db3d7, v8
	v_add_f32_e32 v8, v16, v36
	v_fma_f32 v16, -0.5, v6, v16
	v_add_f32_e32 v11, v32, v29
	s_delay_alu instid0(VALU_DEP_3) | instskip(SKIP_1) | instid1(VALU_DEP_4)
	v_add_f32_e32 v4, v8, v33
	v_sub_f32_e32 v8, v36, v33
	v_fmamk_f32 v6, v22, 0xbf5db3d7, v16
	v_fmac_f32_e32 v16, 0x3f5db3d7, v22
	v_add_f32_e32 v22, v18, v32
	v_fma_f32 v18, -0.5, v11, v18
	v_fmamk_f32 v7, v8, 0x3f5db3d7, v17
	v_fmac_f32_e32 v17, 0xbf5db3d7, v8
	v_sub_f32_e32 v11, v10, v9
	v_add_f32_e32 v8, v22, v29
	v_dual_add_f32 v22, v19, v10 :: v_dual_fmac_f32 v19, -0.5, v23
	s_delay_alu instid0(VALU_DEP_3) | instskip(NEXT) | instid1(VALU_DEP_2)
	v_dual_sub_f32 v23, v32, v29 :: v_dual_fmamk_f32 v10, v11, 0xbf5db3d7, v18
	v_dual_fmac_f32 v18, 0x3f5db3d7, v11 :: v_dual_add_f32 v9, v22, v9
	s_delay_alu instid0(VALU_DEP_2) | instskip(SKIP_3) | instid1(VALU_DEP_4)
	v_dual_add_f32 v22, v28, v25 :: v_dual_fmamk_f32 v11, v23, 0x3f5db3d7, v19
	v_fmac_f32_e32 v19, 0xbf5db3d7, v23
	v_add_f32_e32 v23, v12, v13
	v_sub_f32_e32 v28, v28, v25
	v_fma_f32 v20, -0.5, v22, v20
	v_add_f32_e32 v12, v24, v25
	v_add_f32_e32 v13, v27, v13
	s_delay_alu instid0(VALU_DEP_3) | instskip(NEXT) | instid1(VALU_DEP_1)
	v_dual_fmac_f32 v21, -0.5, v23 :: v_dual_fmamk_f32 v22, v26, 0xbf5db3d7, v20
	v_dual_fmac_f32 v20, 0x3f5db3d7, v26 :: v_dual_fmamk_f32 v23, v28, 0x3f5db3d7, v21
	v_fmac_f32_e32 v21, 0xbf5db3d7, v28
	ds_store_2addr_b64 v123, v[0:1], v[2:3] offset1:48
	ds_store_b64 v123, v[14:15] offset:768
	ds_store_2addr_b64 v124, v[4:5], v[6:7] offset1:48
	ds_store_b64 v124, v[16:17] offset:768
	;; [unrolled: 2-line block ×4, first 2 shown]
	global_wb scope:SCOPE_SE
	s_wait_dscnt 0x0
	s_barrier_signal -1
	s_barrier_wait -1
	global_inv scope:SCOPE_SE
	ds_load_b64 v[0:1], v115 offset:10368
	ds_load_b64 v[2:3], v115 offset:20736
	ds_load_b64 v[4:5], v115 offset:12960
	ds_load_b64 v[6:7], v115 offset:23328
	ds_load_b64 v[8:9], v115 offset:25920
	ds_load_b64 v[10:11], v115 offset:15552
	ds_load_b64 v[12:13], v115 offset:18144
	ds_load_b64 v[14:15], v115
	ds_load_b64 v[16:17], v115 offset:2592
	ds_load_b64 v[18:19], v115 offset:5184
	;; [unrolled: 1-line block ×4, first 2 shown]
	global_wb scope:SCOPE_SE
	s_wait_dscnt 0x0
	s_barrier_signal -1
	s_barrier_wait -1
	global_inv scope:SCOPE_SE
	v_mul_f32_e32 v24, v53, v1
	v_dual_mul_f32 v25, v53, v0 :: v_dual_mul_f32 v26, v55, v3
	v_mul_f32_e32 v27, v51, v7
	s_delay_alu instid0(VALU_DEP_3) | instskip(SKIP_3) | instid1(VALU_DEP_4)
	v_dual_mul_f32 v29, v47, v9 :: v_dual_fmac_f32 v24, v52, v0
	v_mul_f32_e32 v0, v55, v2
	v_mul_f32_e32 v28, v45, v11
	v_fmac_f32_e32 v26, v54, v2
	v_fmac_f32_e32 v29, v46, v8
	v_fma_f32 v1, v52, v1, -v25
	v_fma_f32 v3, v54, v3, -v0
	v_dual_mul_f32 v0, v51, v6 :: v_dual_mul_f32 v25, v49, v5
	v_dual_mul_f32 v30, v41, v13 :: v_dual_mul_f32 v31, v43, v23
	v_fmac_f32_e32 v27, v50, v6
	s_delay_alu instid0(VALU_DEP_3) | instskip(SKIP_3) | instid1(VALU_DEP_3)
	v_fma_f32 v7, v50, v7, -v0
	v_mul_f32_e32 v0, v47, v8
	v_fmac_f32_e32 v25, v48, v4
	v_fmac_f32_e32 v31, v42, v22
	v_fma_f32 v9, v46, v9, -v0
	v_fmac_f32_e32 v28, v44, v10
	v_mul_f32_e32 v2, v49, v4
	v_mul_f32_e32 v0, v43, v22
	v_fmac_f32_e32 v30, v40, v12
	s_delay_alu instid0(VALU_DEP_3) | instskip(SKIP_1) | instid1(VALU_DEP_2)
	v_fma_f32 v5, v48, v5, -v2
	v_mul_f32_e32 v2, v45, v10
	v_sub_f32_e32 v22, v5, v7
	s_delay_alu instid0(VALU_DEP_2) | instskip(SKIP_3) | instid1(VALU_DEP_3)
	v_fma_f32 v10, v44, v11, -v2
	v_mul_f32_e32 v2, v41, v12
	v_add_f32_e32 v11, v5, v7
	v_add_f32_e32 v5, v17, v5
	v_fma_f32 v12, v40, v13, -v2
	v_fma_f32 v13, v42, v23, -v0
	v_add_f32_e32 v4, v14, v24
	v_add_f32_e32 v6, v1, v3
	v_dual_fmac_f32 v17, -0.5, v11 :: v_dual_add_f32 v2, v24, v26
	s_delay_alu instid0(VALU_DEP_3) | instskip(SKIP_2) | instid1(VALU_DEP_4)
	v_dual_add_f32 v23, v10, v9 :: v_dual_add_f32 v0, v4, v26
	v_sub_f32_e32 v4, v24, v26
	v_add_f32_e32 v26, v21, v12
	v_fma_f32 v14, -0.5, v2, v14
	v_dual_sub_f32 v8, v1, v3 :: v_dual_add_f32 v1, v15, v1
	v_dual_fmac_f32 v15, -0.5, v6 :: v_dual_add_f32 v6, v25, v27
	v_add_f32_e32 v11, v28, v29
	s_delay_alu instid0(VALU_DEP_3)
	v_fmamk_f32 v2, v8, 0xbf5db3d7, v14
	v_fmac_f32_e32 v14, 0x3f5db3d7, v8
	v_add_f32_e32 v8, v16, v25
	v_fma_f32 v16, -0.5, v6, v16
	v_add_f32_e32 v1, v1, v3
	v_fmamk_f32 v3, v4, 0x3f5db3d7, v15
	s_delay_alu instid0(VALU_DEP_4) | instskip(SKIP_4) | instid1(VALU_DEP_4)
	v_dual_fmac_f32 v15, 0xbf5db3d7, v4 :: v_dual_add_f32 v4, v8, v27
	v_sub_f32_e32 v8, v25, v27
	v_fmamk_f32 v6, v22, 0xbf5db3d7, v16
	v_fmac_f32_e32 v16, 0x3f5db3d7, v22
	v_dual_add_f32 v22, v18, v28 :: v_dual_add_f32 v5, v5, v7
	v_fmamk_f32 v7, v8, 0x3f5db3d7, v17
	v_fmac_f32_e32 v17, 0xbf5db3d7, v8
	v_fma_f32 v18, -0.5, v11, v18
	v_sub_f32_e32 v11, v10, v9
	v_add_f32_e32 v8, v22, v29
	v_dual_add_f32 v22, v19, v10 :: v_dual_fmac_f32 v19, -0.5, v23
	s_delay_alu instid0(VALU_DEP_3) | instskip(NEXT) | instid1(VALU_DEP_2)
	v_dual_sub_f32 v23, v28, v29 :: v_dual_fmamk_f32 v10, v11, 0xbf5db3d7, v18
	v_dual_fmac_f32 v18, 0x3f5db3d7, v11 :: v_dual_add_f32 v9, v22, v9
	s_delay_alu instid0(VALU_DEP_2) | instskip(SKIP_3) | instid1(VALU_DEP_4)
	v_dual_add_f32 v22, v30, v31 :: v_dual_fmamk_f32 v11, v23, 0x3f5db3d7, v19
	v_fmac_f32_e32 v19, 0xbf5db3d7, v23
	v_add_f32_e32 v23, v12, v13
	v_add_f32_e32 v24, v20, v30
	v_fma_f32 v20, -0.5, v22, v20
	v_sub_f32_e32 v25, v12, v13
	v_sub_f32_e32 v27, v30, v31
	v_fmac_f32_e32 v21, -0.5, v23
	v_dual_add_f32 v12, v24, v31 :: v_dual_add_f32 v13, v26, v13
	s_delay_alu instid0(VALU_DEP_4) | instskip(NEXT) | instid1(VALU_DEP_3)
	v_fmamk_f32 v22, v25, 0xbf5db3d7, v20
	v_dual_fmac_f32 v20, 0x3f5db3d7, v25 :: v_dual_fmamk_f32 v23, v27, 0x3f5db3d7, v21
	v_fmac_f32_e32 v21, 0xbf5db3d7, v27
	ds_store_2addr_b64 v128, v[0:1], v[2:3] offset1:144
	ds_store_b64 v128, v[14:15] offset:2304
	ds_store_2addr_b64 v127, v[4:5], v[6:7] offset1:144
	ds_store_b64 v127, v[16:17] offset:2304
	;; [unrolled: 2-line block ×4, first 2 shown]
	global_wb scope:SCOPE_SE
	s_wait_dscnt 0x0
	s_barrier_signal -1
	s_barrier_wait -1
	global_inv scope:SCOPE_SE
	ds_load_b64 v[0:1], v115 offset:10368
	ds_load_b64 v[2:3], v115 offset:20736
	;; [unrolled: 1-line block ×7, first 2 shown]
	ds_load_b64 v[14:15], v115
	ds_load_b64 v[16:17], v115 offset:2592
	ds_load_b64 v[18:19], v115 offset:5184
	ds_load_b64 v[20:21], v115 offset:7776
	ds_load_b64 v[22:23], v115 offset:28512
	global_wb scope:SCOPE_SE
	s_wait_dscnt 0x0
	s_barrier_signal -1
	s_barrier_wait -1
	global_inv scope:SCOPE_SE
	v_mul_f32_e32 v24, v69, v1
	v_dual_mul_f32 v25, v69, v0 :: v_dual_mul_f32 v26, v71, v3
	v_mul_f32_e32 v27, v67, v7
	s_delay_alu instid0(VALU_DEP_3) | instskip(SKIP_3) | instid1(VALU_DEP_4)
	v_dual_mul_f32 v29, v63, v9 :: v_dual_fmac_f32 v24, v68, v0
	v_mul_f32_e32 v0, v71, v2
	v_mul_f32_e32 v28, v61, v11
	v_fmac_f32_e32 v26, v70, v2
	v_fmac_f32_e32 v29, v62, v8
	v_fma_f32 v1, v68, v1, -v25
	v_fma_f32 v3, v70, v3, -v0
	v_fmac_f32_e32 v28, v60, v10
	v_dual_mul_f32 v0, v67, v6 :: v_dual_mul_f32 v25, v65, v5
	v_dual_mul_f32 v30, v57, v13 :: v_dual_mul_f32 v31, v59, v23
	v_fmac_f32_e32 v27, v66, v6
	s_delay_alu instid0(VALU_DEP_3) | instskip(SKIP_1) | instid1(VALU_DEP_4)
	v_fma_f32 v7, v66, v7, -v0
	v_mul_f32_e32 v0, v63, v8
	v_dual_fmac_f32 v30, v56, v12 :: v_dual_fmac_f32 v31, v58, v22
	v_dual_fmac_f32 v25, v64, v4 :: v_dual_add_f32 v6, v1, v3
	s_delay_alu instid0(VALU_DEP_3) | instskip(SKIP_4) | instid1(VALU_DEP_4)
	v_fma_f32 v9, v62, v9, -v0
	v_mul_f32_e32 v2, v65, v4
	v_mul_f32_e32 v0, v59, v22
	v_dual_sub_f32 v8, v1, v3 :: v_dual_add_f32 v1, v15, v1
	v_fmac_f32_e32 v15, -0.5, v6
	v_fma_f32 v5, v64, v5, -v2
	v_mul_f32_e32 v2, v61, v10
	v_add_f32_e32 v6, v25, v27
	v_add_f32_e32 v1, v1, v3
	s_delay_alu instid0(VALU_DEP_4) | instskip(NEXT) | instid1(VALU_DEP_4)
	v_sub_f32_e32 v22, v5, v7
	v_fma_f32 v10, v60, v11, -v2
	v_mul_f32_e32 v2, v57, v12
	v_add_f32_e32 v11, v5, v7
	v_add_f32_e32 v5, v17, v5
	s_delay_alu instid0(VALU_DEP_3) | instskip(SKIP_1) | instid1(VALU_DEP_3)
	v_fma_f32 v12, v56, v13, -v2
	v_fma_f32 v13, v58, v23, -v0
	v_dual_add_f32 v5, v5, v7 :: v_dual_add_f32 v2, v24, v26
	v_dual_add_f32 v4, v14, v24 :: v_dual_fmac_f32 v17, -0.5, v11
	v_add_f32_e32 v11, v28, v29
	v_add_f32_e32 v23, v10, v9
	s_delay_alu instid0(VALU_DEP_4) | instskip(NEXT) | instid1(VALU_DEP_4)
	v_fma_f32 v14, -0.5, v2, v14
	v_add_f32_e32 v0, v4, v26
	v_sub_f32_e32 v4, v24, v26
	v_add_f32_e32 v26, v21, v12
	s_delay_alu instid0(VALU_DEP_4) | instskip(SKIP_4) | instid1(VALU_DEP_3)
	v_fmamk_f32 v2, v8, 0xbf5db3d7, v14
	v_fmac_f32_e32 v14, 0x3f5db3d7, v8
	v_add_f32_e32 v8, v16, v25
	v_fma_f32 v16, -0.5, v6, v16
	v_fmamk_f32 v3, v4, 0x3f5db3d7, v15
	v_dual_fmac_f32 v15, 0xbf5db3d7, v4 :: v_dual_add_f32 v4, v8, v27
	v_sub_f32_e32 v8, v25, v27
	s_delay_alu instid0(VALU_DEP_4)
	v_fmamk_f32 v6, v22, 0xbf5db3d7, v16
	v_fmac_f32_e32 v16, 0x3f5db3d7, v22
	v_add_f32_e32 v22, v18, v28
	v_fma_f32 v18, -0.5, v11, v18
	v_fmamk_f32 v7, v8, 0x3f5db3d7, v17
	v_fmac_f32_e32 v17, 0xbf5db3d7, v8
	v_sub_f32_e32 v11, v10, v9
	v_add_f32_e32 v8, v22, v29
	v_dual_add_f32 v22, v19, v10 :: v_dual_fmac_f32 v19, -0.5, v23
	s_delay_alu instid0(VALU_DEP_3) | instskip(NEXT) | instid1(VALU_DEP_2)
	v_dual_sub_f32 v23, v28, v29 :: v_dual_fmamk_f32 v10, v11, 0xbf5db3d7, v18
	v_dual_fmac_f32 v18, 0x3f5db3d7, v11 :: v_dual_add_f32 v9, v22, v9
	v_sub_f32_e32 v25, v12, v13
	s_delay_alu instid0(VALU_DEP_3)
	v_fmamk_f32 v11, v23, 0x3f5db3d7, v19
	v_fmac_f32_e32 v19, 0xbf5db3d7, v23
	v_add_f32_e32 v23, v12, v13
	v_add_f32_e32 v13, v26, v13
	;; [unrolled: 1-line block ×3, first 2 shown]
	v_dual_add_f32 v24, v20, v30 :: v_dual_sub_f32 v27, v30, v31
	s_delay_alu instid0(VALU_DEP_4) | instskip(NEXT) | instid1(VALU_DEP_3)
	v_fmac_f32_e32 v21, -0.5, v23
	v_fma_f32 v20, -0.5, v22, v20
	s_delay_alu instid0(VALU_DEP_2) | instskip(NEXT) | instid1(VALU_DEP_2)
	v_dual_add_f32 v12, v24, v31 :: v_dual_fmamk_f32 v23, v27, 0x3f5db3d7, v21
	v_dual_fmac_f32 v21, 0xbf5db3d7, v27 :: v_dual_fmamk_f32 v22, v25, 0xbf5db3d7, v20
	v_fmac_f32_e32 v20, 0x3f5db3d7, v25
	ds_store_b64 v115, v[0:1]
	ds_store_b64 v115, v[2:3] offset:3456
	ds_store_b64 v115, v[14:15] offset:6912
	ds_store_b64 v131, v[4:5]
	ds_store_b64 v131, v[6:7] offset:3456
	ds_store_b64 v131, v[16:17] offset:6912
	ds_store_b64 v130, v[8:9]
	ds_store_b64 v130, v[10:11] offset:3456
	ds_store_b64 v130, v[18:19] offset:6912
	ds_store_b64 v129, v[12:13] offset:20736
	ds_store_b64 v129, v[22:23] offset:24192
	;; [unrolled: 1-line block ×3, first 2 shown]
	global_wb scope:SCOPE_SE
	s_wait_dscnt 0x0
	s_barrier_signal -1
	s_barrier_wait -1
	global_inv scope:SCOPE_SE
	ds_load_b64 v[0:1], v115 offset:10368
	ds_load_b64 v[2:3], v115 offset:20736
	;; [unrolled: 1-line block ×7, first 2 shown]
	ds_load_b64 v[14:15], v115
	ds_load_b64 v[16:17], v115 offset:2592
	ds_load_b64 v[18:19], v115 offset:5184
	;; [unrolled: 1-line block ×4, first 2 shown]
	s_wait_dscnt 0xb
	v_mul_f32_e32 v24, v85, v1
	v_mul_f32_e32 v25, v85, v0
	s_wait_dscnt 0x8
	v_mul_f32_e32 v27, v83, v7
	s_wait_dscnt 0x6
	v_dual_mul_f32 v29, v79, v9 :: v_dual_mul_f32 v28, v77, v11
	v_fmac_f32_e32 v24, v84, v0
	v_mul_f32_e32 v0, v87, v2
	s_wait_dscnt 0x5
	s_delay_alu instid0(VALU_DEP_3)
	v_dual_mul_f32 v30, v73, v13 :: v_dual_fmac_f32 v29, v78, v8
	v_fmac_f32_e32 v28, v76, v10
	v_mul_f32_e32 v26, v87, v3
	s_wait_dscnt 0x0
	v_mul_f32_e32 v31, v75, v23
	v_fma_f32 v1, v84, v1, -v25
	v_dual_mul_f32 v25, v81, v5 :: v_dual_fmac_f32 v30, v72, v12
	v_fmac_f32_e32 v26, v86, v2
	s_delay_alu instid0(VALU_DEP_4) | instskip(SKIP_1) | instid1(VALU_DEP_4)
	v_dual_mul_f32 v2, v81, v4 :: v_dual_fmac_f32 v31, v74, v22
	v_fma_f32 v3, v86, v3, -v0
	v_dual_mul_f32 v0, v83, v6 :: v_dual_fmac_f32 v25, v80, v4
	s_delay_alu instid0(VALU_DEP_3) | instskip(SKIP_2) | instid1(VALU_DEP_4)
	v_fma_f32 v5, v80, v5, -v2
	v_mul_f32_e32 v2, v77, v10
	v_fmac_f32_e32 v27, v82, v6
	v_fma_f32 v7, v82, v7, -v0
	v_mul_f32_e32 v0, v79, v8
	v_add_f32_e32 v6, v1, v3
	v_fma_f32 v10, v76, v11, -v2
	v_mul_f32_e32 v2, v73, v12
	v_add_f32_e32 v4, v14, v24
	v_fma_f32 v9, v78, v9, -v0
	v_mul_f32_e32 v0, v75, v22
	v_sub_f32_e32 v8, v1, v3
	v_fma_f32 v12, v72, v13, -v2
	v_dual_add_f32 v2, v24, v26 :: v_dual_add_f32 v1, v15, v1
	v_dual_fmac_f32 v15, -0.5, v6 :: v_dual_add_f32 v6, v25, v27
	v_fma_f32 v13, v74, v23, -v0
	s_delay_alu instid0(VALU_DEP_3) | instskip(SKIP_3) | instid1(VALU_DEP_4)
	v_fma_f32 v14, -0.5, v2, v14
	v_add_f32_e32 v0, v4, v26
	v_dual_sub_f32 v4, v24, v26 :: v_dual_add_f32 v11, v5, v7
	v_sub_f32_e32 v22, v5, v7
	v_fmamk_f32 v2, v8, 0xbf5db3d7, v14
	v_fmac_f32_e32 v14, 0x3f5db3d7, v8
	v_add_f32_e32 v8, v16, v25
	v_fma_f32 v16, -0.5, v6, v16
	v_add_f32_e32 v1, v1, v3
	v_fmamk_f32 v3, v4, 0x3f5db3d7, v15
	s_delay_alu instid0(VALU_DEP_4)
	v_dual_fmac_f32 v15, 0xbf5db3d7, v4 :: v_dual_add_f32 v4, v8, v27
	v_add_f32_e32 v5, v17, v5
	v_fmac_f32_e32 v17, -0.5, v11
	v_sub_f32_e32 v8, v25, v27
	v_fmamk_f32 v6, v22, 0xbf5db3d7, v16
	v_dual_fmac_f32 v16, 0x3f5db3d7, v22 :: v_dual_add_f32 v11, v28, v29
	v_add_f32_e32 v22, v18, v28
	v_add_f32_e32 v23, v10, v9
	v_add_f32_e32 v5, v5, v7
	v_fmamk_f32 v7, v8, 0x3f5db3d7, v17
	v_fmac_f32_e32 v17, 0xbf5db3d7, v8
	v_fma_f32 v18, -0.5, v11, v18
	v_sub_f32_e32 v11, v10, v9
	v_add_f32_e32 v8, v22, v29
	v_dual_add_f32 v22, v19, v10 :: v_dual_fmac_f32 v19, -0.5, v23
	s_delay_alu instid0(VALU_DEP_3) | instskip(NEXT) | instid1(VALU_DEP_2)
	v_dual_sub_f32 v23, v28, v29 :: v_dual_fmamk_f32 v10, v11, 0xbf5db3d7, v18
	v_dual_fmac_f32 v18, 0x3f5db3d7, v11 :: v_dual_add_f32 v9, v22, v9
	s_delay_alu instid0(VALU_DEP_2)
	v_dual_add_f32 v22, v30, v31 :: v_dual_fmamk_f32 v11, v23, 0x3f5db3d7, v19
	v_fmac_f32_e32 v19, 0xbf5db3d7, v23
	v_add_f32_e32 v23, v12, v13
	v_add_f32_e32 v24, v20, v30
	;; [unrolled: 1-line block ×3, first 2 shown]
	v_fma_f32 v20, -0.5, v22, v20
	v_sub_f32_e32 v25, v12, v13
	v_fmac_f32_e32 v21, -0.5, v23
	v_sub_f32_e32 v27, v30, v31
	v_dual_add_f32 v12, v24, v31 :: v_dual_add_f32 v13, v26, v13
	s_delay_alu instid0(VALU_DEP_4) | instskip(NEXT) | instid1(VALU_DEP_3)
	v_fmamk_f32 v22, v25, 0xbf5db3d7, v20
	v_dual_fmac_f32 v20, 0x3f5db3d7, v25 :: v_dual_fmamk_f32 v23, v27, 0x3f5db3d7, v21
	v_fmac_f32_e32 v21, 0xbf5db3d7, v27
	ds_store_b64 v115, v[0:1]
	ds_store_b64 v115, v[4:5] offset:2592
	ds_store_b64 v115, v[8:9] offset:5184
	;; [unrolled: 1-line block ×11, first 2 shown]
	global_wb scope:SCOPE_SE
	s_wait_dscnt 0x0
	s_barrier_signal -1
	s_barrier_wait -1
	global_inv scope:SCOPE_SE
	s_and_b32 exec_lo, exec_lo, vcc_lo
	s_cbranch_execz .LBB0_17
; %bb.16:
	s_clause 0xb
	global_load_b64 v[12:13], v113, s[8:9]
	global_load_b64 v[14:15], v113, s[8:9] offset:1944
	global_load_b64 v[16:17], v113, s[8:9] offset:3888
	;; [unrolled: 1-line block ×11, first 2 shown]
	v_mad_co_u64_u32 v[8:9], null, s6, v112, 0
	v_mad_co_u64_u32 v[36:37], null, s4, v114, 0
	ds_load_b64 v[38:39], v113 offset:5832
	ds_load_b64 v[40:41], v115
	s_mov_b32 s2, 0xa88f4696
	s_mov_b32 s3, 0x3f30db20
	v_mov_b32_e32 v0, v9
	s_mul_u64 s[0:1], s[4:5], 0x798
	v_mov_b32_e32 v1, v37
	s_delay_alu instid0(VALU_DEP_1) | instskip(NEXT) | instid1(VALU_DEP_1)
	v_mad_co_u64_u32 v[4:5], null, s7, v112, v[0:1]
	v_dual_mov_b32 v9, v4 :: v_dual_add_nc_u32 v2, 0x780, v113
	s_delay_alu instid0(VALU_DEP_1) | instskip(SKIP_3) | instid1(VALU_DEP_2)
	v_mad_co_u64_u32 v[10:11], null, s5, v114, v[1:2]
	ds_load_2addr_b64 v[0:3], v2 offset0:3 offset1:246
	v_lshlrev_b64_e32 v[48:49], 3, v[8:9]
	v_mov_b32_e32 v37, v10
	v_add_co_u32 v56, vcc_lo, s12, v48
	s_delay_alu instid0(VALU_DEP_3)
	v_add_co_ci_u32_e32 v57, vcc_lo, s13, v49, vcc_lo
	s_wait_loadcnt_dscnt 0xb01
	v_mul_f32_e32 v48, v41, v13
	v_add_nc_u32_e32 v5, 0x25c0, v113
	s_wait_loadcnt_dscnt 0x900
	v_dual_mul_f32 v49, v1, v15 :: v_dual_mul_f32 v58, v3, v17
	s_delay_alu instid0(VALU_DEP_3)
	v_dual_fmac_f32 v48, v40, v12 :: v_dual_add_nc_u32 v11, 0x4400, v113
	ds_load_b64 v[42:43], v115 offset:7776
	ds_load_b64 v[44:45], v115 offset:15552
	;; [unrolled: 1-line block ×3, first 2 shown]
	ds_load_2addr_b64 v[4:7], v5 offset0:7 offset1:250
	v_dual_mul_f32 v15, v0, v15 :: v_dual_fmac_f32 v58, v2, v16
	ds_load_b64 v[50:51], v113 offset:13608
	ds_load_b64 v[52:53], v113 offset:21384
	;; [unrolled: 1-line block ×3, first 2 shown]
	ds_load_2addr_b64 v[8:11], v11 offset0:11 offset1:254
	s_wait_loadcnt 0x8
	v_mul_f32_e32 v59, v39, v19
	v_mul_f32_e32 v19, v38, v19
	v_fmac_f32_e32 v49, v0, v14
	v_lshlrev_b64_e32 v[36:37], 3, v[36:37]
	s_delay_alu instid0(VALU_DEP_1) | instskip(SKIP_1) | instid1(VALU_DEP_2)
	v_add_co_u32 v36, vcc_lo, v56, v36
	s_wait_alu 0xfffd
	v_add_co_ci_u32_e32 v37, vcc_lo, v57, v37, vcc_lo
	s_wait_loadcnt_dscnt 0x707
	v_mul_f32_e32 v60, v43, v21
	v_mul_f32_e32 v13, v40, v13
	s_wait_loadcnt_dscnt 0x306
	v_mul_f32_e32 v64, v45, v29
	v_mul_f32_e32 v17, v2, v17
	;; [unrolled: 1-line block ×3, first 2 shown]
	s_wait_loadcnt_dscnt 0x100
	v_dual_mul_f32 v61, v5, v23 :: v_dual_mul_f32 v66, v11, v33
	v_dual_mul_f32 v62, v7, v25 :: v_dual_mul_f32 v23, v4, v23
	v_fmac_f32_e32 v60, v42, v20
	v_fma_f32 v12, v12, v41, -v13
	v_mul_f32_e32 v25, v6, v25
	v_fma_f32 v13, v14, v1, -v15
	v_dual_mul_f32 v63, v51, v27 :: v_dual_fmac_f32 v66, v10, v32
	v_mul_f32_e32 v27, v50, v27
	v_mul_f32_e32 v65, v9, v31
	;; [unrolled: 1-line block ×3, first 2 shown]
	v_dual_mul_f32 v33, v10, v33 :: v_dual_fmac_f32 v64, v44, v28
	v_fma_f32 v14, v16, v3, -v17
	v_mul_f32_e32 v29, v44, v29
	v_fmac_f32_e32 v59, v38, v18
	v_fma_f32 v15, v18, v39, -v19
	v_fma_f32 v18, v20, v43, -v21
	v_dual_fmac_f32 v61, v4, v22 :: v_dual_fmac_f32 v62, v6, v24
	v_fma_f32 v22, v22, v5, -v23
	v_cvt_f64_f32_e32 v[0:1], v48
	v_cvt_f64_f32_e32 v[2:3], v12
	s_wait_loadcnt 0x0
	v_mul_f32_e32 v67, v53, v35
	v_mul_f32_e32 v35, v52, v35
	v_fma_f32 v38, v24, v7, -v25
	v_cvt_f64_f32_e32 v[4:5], v49
	v_cvt_f64_f32_e32 v[6:7], v13
	v_fmac_f32_e32 v63, v50, v26
	v_fma_f32 v39, v26, v51, -v27
	v_fmac_f32_e32 v65, v8, v30
	v_fma_f32 v41, v30, v9, -v31
	v_fma_f32 v44, v32, v11, -v33
	v_cvt_f64_f32_e32 v[8:9], v58
	v_cvt_f64_f32_e32 v[10:11], v14
	v_fma_f32 v40, v28, v45, -v29
	v_cvt_f64_f32_e32 v[12:13], v59
	v_cvt_f64_f32_e32 v[14:15], v15
	;; [unrolled: 1-line block ×6, first 2 shown]
	v_fmac_f32_e32 v67, v52, v34
	v_fma_f32 v50, v34, v53, -v35
	v_cvt_f64_f32_e32 v[24:25], v62
	v_cvt_f64_f32_e32 v[26:27], v38
	;; [unrolled: 1-line block ×12, first 2 shown]
	s_wait_alu 0xfffe
	v_add_co_u32 v52, vcc_lo, v36, s0
	s_wait_alu 0xfffd
	v_add_co_ci_u32_e32 v53, vcc_lo, s1, v37, vcc_lo
	v_mul_f64_e32 v[0:1], s[2:3], v[0:1]
	v_mul_f64_e32 v[2:3], s[2:3], v[2:3]
	v_add_co_u32 v56, vcc_lo, v52, s0
	v_mul_f64_e32 v[4:5], s[2:3], v[4:5]
	v_mul_f64_e32 v[6:7], s[2:3], v[6:7]
	s_wait_alu 0xfffd
	v_add_co_ci_u32_e32 v57, vcc_lo, s1, v53, vcc_lo
	v_add_co_u32 v58, vcc_lo, v56, s0
	v_mul_f64_e32 v[8:9], s[2:3], v[8:9]
	v_mul_f64_e32 v[10:11], s[2:3], v[10:11]
	s_wait_alu 0xfffd
	v_add_co_ci_u32_e32 v59, vcc_lo, s1, v57, vcc_lo
	v_mul_f64_e32 v[12:13], s[2:3], v[12:13]
	v_mul_f64_e32 v[14:15], s[2:3], v[14:15]
	;; [unrolled: 1-line block ×6, first 2 shown]
	v_add_co_u32 v60, vcc_lo, v58, s0
	v_mul_f64_e32 v[24:25], s[2:3], v[24:25]
	v_mul_f64_e32 v[26:27], s[2:3], v[26:27]
	v_mul_f64_e32 v[28:29], s[2:3], v[28:29]
	v_mul_f64_e32 v[30:31], s[2:3], v[30:31]
	v_mul_f64_e32 v[32:33], s[2:3], v[32:33]
	v_mul_f64_e32 v[34:35], s[2:3], v[34:35]
	v_mul_f64_e32 v[38:39], s[2:3], v[38:39]
	v_mul_f64_e32 v[40:41], s[2:3], v[40:41]
	v_mul_f64_e32 v[42:43], s[2:3], v[42:43]
	v_mul_f64_e32 v[44:45], s[2:3], v[44:45]
	v_mul_f64_e32 v[48:49], s[2:3], v[48:49]
	v_mul_f64_e32 v[50:51], s[2:3], v[50:51]
	s_wait_alu 0xfffd
	v_add_co_ci_u32_e32 v61, vcc_lo, s1, v59, vcc_lo
	v_add_co_u32 v62, vcc_lo, v60, s0
	v_cvt_f32_f64_e32 v0, v[0:1]
	v_cvt_f32_f64_e32 v1, v[2:3]
	s_wait_alu 0xfffd
	v_add_co_ci_u32_e32 v63, vcc_lo, s1, v61, vcc_lo
	v_cvt_f32_f64_e32 v2, v[4:5]
	v_cvt_f32_f64_e32 v3, v[6:7]
	;; [unrolled: 1-line block ×22, first 2 shown]
	v_add_co_u32 v24, vcc_lo, v62, s0
	s_wait_alu 0xfffd
	v_add_co_ci_u32_e32 v25, vcc_lo, s1, v63, vcc_lo
	s_delay_alu instid0(VALU_DEP_2) | instskip(SKIP_1) | instid1(VALU_DEP_2)
	v_add_co_u32 v26, vcc_lo, v24, s0
	s_wait_alu 0xfffd
	v_add_co_ci_u32_e32 v27, vcc_lo, s1, v25, vcc_lo
	s_delay_alu instid0(VALU_DEP_2) | instskip(SKIP_1) | instid1(VALU_DEP_2)
	;; [unrolled: 4-line block ×5, first 2 shown]
	v_add_co_u32 v34, vcc_lo, v32, s0
	s_wait_alu 0xfffd
	v_add_co_ci_u32_e32 v35, vcc_lo, s1, v33, vcc_lo
	s_clause 0x4
	global_store_b64 v[36:37], v[0:1], off
	global_store_b64 v[52:53], v[2:3], off
	;; [unrolled: 1-line block ×12, first 2 shown]
	global_load_b64 v[0:1], v113, s[8:9] offset:23328
	v_add_co_u32 v4, vcc_lo, v34, s0
	s_wait_alu 0xfffd
	v_add_co_ci_u32_e32 v5, vcc_lo, s1, v35, vcc_lo
	s_wait_loadcnt 0x0
	v_mul_f32_e32 v2, v47, v1
	v_mul_f32_e32 v1, v46, v1
	s_delay_alu instid0(VALU_DEP_2) | instskip(NEXT) | instid1(VALU_DEP_2)
	v_fmac_f32_e32 v2, v46, v0
	v_fma_f32 v3, v0, v47, -v1
	s_delay_alu instid0(VALU_DEP_2) | instskip(NEXT) | instid1(VALU_DEP_2)
	v_cvt_f64_f32_e32 v[0:1], v2
	v_cvt_f64_f32_e32 v[2:3], v3
	s_delay_alu instid0(VALU_DEP_2) | instskip(NEXT) | instid1(VALU_DEP_2)
	v_mul_f64_e32 v[0:1], s[2:3], v[0:1]
	v_mul_f64_e32 v[2:3], s[2:3], v[2:3]
	s_delay_alu instid0(VALU_DEP_2) | instskip(NEXT) | instid1(VALU_DEP_2)
	v_cvt_f32_f64_e32 v0, v[0:1]
	v_cvt_f32_f64_e32 v1, v[2:3]
	global_store_b64 v[4:5], v[0:1], off
	global_load_b64 v[6:7], v113, s[8:9] offset:25272
	v_add_nc_u32_e32 v0, 0x6280, v113
	v_add_co_u32 v4, vcc_lo, v4, s0
	s_wait_alu 0xfffd
	v_add_co_ci_u32_e32 v5, vcc_lo, s1, v5, vcc_lo
	ds_load_2addr_b64 v[0:3], v0 offset0:7 offset1:250
	s_wait_loadcnt_dscnt 0x0
	v_mul_f32_e32 v8, v1, v7
	v_mul_f32_e32 v7, v0, v7
	s_delay_alu instid0(VALU_DEP_2) | instskip(NEXT) | instid1(VALU_DEP_2)
	v_fmac_f32_e32 v8, v0, v6
	v_fma_f32 v6, v6, v1, -v7
	s_delay_alu instid0(VALU_DEP_2) | instskip(NEXT) | instid1(VALU_DEP_2)
	v_cvt_f64_f32_e32 v[0:1], v8
	v_cvt_f64_f32_e32 v[6:7], v6
	s_delay_alu instid0(VALU_DEP_2) | instskip(NEXT) | instid1(VALU_DEP_2)
	v_mul_f64_e32 v[0:1], s[2:3], v[0:1]
	v_mul_f64_e32 v[6:7], s[2:3], v[6:7]
	s_delay_alu instid0(VALU_DEP_2) | instskip(NEXT) | instid1(VALU_DEP_2)
	v_cvt_f32_f64_e32 v0, v[0:1]
	v_cvt_f32_f64_e32 v1, v[6:7]
	global_store_b64 v[4:5], v[0:1], off
	global_load_b64 v[0:1], v113, s[8:9] offset:27216
	s_wait_loadcnt 0x0
	v_mul_f32_e32 v6, v3, v1
	v_mul_f32_e32 v1, v2, v1
	s_delay_alu instid0(VALU_DEP_2) | instskip(NEXT) | instid1(VALU_DEP_2)
	v_fmac_f32_e32 v6, v2, v0
	v_fma_f32 v2, v0, v3, -v1
	s_delay_alu instid0(VALU_DEP_2) | instskip(NEXT) | instid1(VALU_DEP_2)
	v_cvt_f64_f32_e32 v[0:1], v6
	v_cvt_f64_f32_e32 v[2:3], v2
	s_delay_alu instid0(VALU_DEP_2) | instskip(NEXT) | instid1(VALU_DEP_2)
	v_mul_f64_e32 v[0:1], s[2:3], v[0:1]
	v_mul_f64_e32 v[2:3], s[2:3], v[2:3]
	s_delay_alu instid0(VALU_DEP_2) | instskip(NEXT) | instid1(VALU_DEP_2)
	v_cvt_f32_f64_e32 v0, v[0:1]
	v_cvt_f32_f64_e32 v1, v[2:3]
	v_add_co_u32 v2, vcc_lo, v4, s0
	s_wait_alu 0xfffd
	v_add_co_ci_u32_e32 v3, vcc_lo, s1, v5, vcc_lo
	global_store_b64 v[2:3], v[0:1], off
	global_load_b64 v[0:1], v113, s[8:9] offset:29160
	v_add_co_u32 v2, vcc_lo, v2, s0
	s_wait_alu 0xfffd
	v_add_co_ci_u32_e32 v3, vcc_lo, s1, v3, vcc_lo
	s_wait_loadcnt 0x0
	v_mul_f32_e32 v4, v55, v1
	v_mul_f32_e32 v1, v54, v1
	s_delay_alu instid0(VALU_DEP_2) | instskip(NEXT) | instid1(VALU_DEP_2)
	v_fmac_f32_e32 v4, v54, v0
	v_fma_f32 v5, v0, v55, -v1
	s_delay_alu instid0(VALU_DEP_2) | instskip(NEXT) | instid1(VALU_DEP_2)
	v_cvt_f64_f32_e32 v[0:1], v4
	v_cvt_f64_f32_e32 v[4:5], v5
	s_delay_alu instid0(VALU_DEP_2) | instskip(NEXT) | instid1(VALU_DEP_2)
	v_mul_f64_e32 v[0:1], s[2:3], v[0:1]
	v_mul_f64_e32 v[4:5], s[2:3], v[4:5]
	s_delay_alu instid0(VALU_DEP_2) | instskip(NEXT) | instid1(VALU_DEP_2)
	v_cvt_f32_f64_e32 v0, v[0:1]
	v_cvt_f32_f64_e32 v1, v[4:5]
	global_store_b64 v[2:3], v[0:1], off
.LBB0_17:
	s_nop 0
	s_sendmsg sendmsg(MSG_DEALLOC_VGPRS)
	s_endpgm
	.section	.rodata,"a",@progbits
	.p2align	6, 0x0
	.amdhsa_kernel bluestein_single_fwd_len3888_dim1_sp_op_CI_CI
		.amdhsa_group_segment_fixed_size 31104
		.amdhsa_private_segment_fixed_size 0
		.amdhsa_kernarg_size 104
		.amdhsa_user_sgpr_count 2
		.amdhsa_user_sgpr_dispatch_ptr 0
		.amdhsa_user_sgpr_queue_ptr 0
		.amdhsa_user_sgpr_kernarg_segment_ptr 1
		.amdhsa_user_sgpr_dispatch_id 0
		.amdhsa_user_sgpr_private_segment_size 0
		.amdhsa_wavefront_size32 1
		.amdhsa_uses_dynamic_stack 0
		.amdhsa_enable_private_segment 0
		.amdhsa_system_sgpr_workgroup_id_x 1
		.amdhsa_system_sgpr_workgroup_id_y 0
		.amdhsa_system_sgpr_workgroup_id_z 0
		.amdhsa_system_sgpr_workgroup_info 0
		.amdhsa_system_vgpr_workitem_id 0
		.amdhsa_next_free_vgpr 173
		.amdhsa_next_free_sgpr 15
		.amdhsa_reserve_vcc 1
		.amdhsa_float_round_mode_32 0
		.amdhsa_float_round_mode_16_64 0
		.amdhsa_float_denorm_mode_32 3
		.amdhsa_float_denorm_mode_16_64 3
		.amdhsa_fp16_overflow 0
		.amdhsa_workgroup_processor_mode 1
		.amdhsa_memory_ordered 1
		.amdhsa_forward_progress 0
		.amdhsa_round_robin_scheduling 0
		.amdhsa_exception_fp_ieee_invalid_op 0
		.amdhsa_exception_fp_denorm_src 0
		.amdhsa_exception_fp_ieee_div_zero 0
		.amdhsa_exception_fp_ieee_overflow 0
		.amdhsa_exception_fp_ieee_underflow 0
		.amdhsa_exception_fp_ieee_inexact 0
		.amdhsa_exception_int_div_zero 0
	.end_amdhsa_kernel
	.text
.Lfunc_end0:
	.size	bluestein_single_fwd_len3888_dim1_sp_op_CI_CI, .Lfunc_end0-bluestein_single_fwd_len3888_dim1_sp_op_CI_CI
                                        ; -- End function
	.section	.AMDGPU.csdata,"",@progbits
; Kernel info:
; codeLenInByte = 15732
; NumSgprs: 17
; NumVgprs: 173
; ScratchSize: 0
; MemoryBound: 0
; FloatMode: 240
; IeeeMode: 1
; LDSByteSize: 31104 bytes/workgroup (compile time only)
; SGPRBlocks: 2
; VGPRBlocks: 21
; NumSGPRsForWavesPerEU: 17
; NumVGPRsForWavesPerEU: 173
; Occupancy: 8
; WaveLimiterHint : 1
; COMPUTE_PGM_RSRC2:SCRATCH_EN: 0
; COMPUTE_PGM_RSRC2:USER_SGPR: 2
; COMPUTE_PGM_RSRC2:TRAP_HANDLER: 0
; COMPUTE_PGM_RSRC2:TGID_X_EN: 1
; COMPUTE_PGM_RSRC2:TGID_Y_EN: 0
; COMPUTE_PGM_RSRC2:TGID_Z_EN: 0
; COMPUTE_PGM_RSRC2:TIDIG_COMP_CNT: 0
	.text
	.p2alignl 7, 3214868480
	.fill 96, 4, 3214868480
	.type	__hip_cuid_b4e58b2b2626a5bf,@object ; @__hip_cuid_b4e58b2b2626a5bf
	.section	.bss,"aw",@nobits
	.globl	__hip_cuid_b4e58b2b2626a5bf
__hip_cuid_b4e58b2b2626a5bf:
	.byte	0                               ; 0x0
	.size	__hip_cuid_b4e58b2b2626a5bf, 1

	.ident	"AMD clang version 19.0.0git (https://github.com/RadeonOpenCompute/llvm-project roc-6.4.0 25133 c7fe45cf4b819c5991fe208aaa96edf142730f1d)"
	.section	".note.GNU-stack","",@progbits
	.addrsig
	.addrsig_sym __hip_cuid_b4e58b2b2626a5bf
	.amdgpu_metadata
---
amdhsa.kernels:
  - .args:
      - .actual_access:  read_only
        .address_space:  global
        .offset:         0
        .size:           8
        .value_kind:     global_buffer
      - .actual_access:  read_only
        .address_space:  global
        .offset:         8
        .size:           8
        .value_kind:     global_buffer
      - .actual_access:  read_only
        .address_space:  global
        .offset:         16
        .size:           8
        .value_kind:     global_buffer
      - .actual_access:  read_only
        .address_space:  global
        .offset:         24
        .size:           8
        .value_kind:     global_buffer
      - .actual_access:  read_only
        .address_space:  global
        .offset:         32
        .size:           8
        .value_kind:     global_buffer
      - .offset:         40
        .size:           8
        .value_kind:     by_value
      - .address_space:  global
        .offset:         48
        .size:           8
        .value_kind:     global_buffer
      - .address_space:  global
        .offset:         56
        .size:           8
        .value_kind:     global_buffer
      - .address_space:  global
        .offset:         64
        .size:           8
        .value_kind:     global_buffer
      - .address_space:  global
        .offset:         72
        .size:           8
        .value_kind:     global_buffer
      - .offset:         80
        .size:           4
        .value_kind:     by_value
      - .address_space:  global
        .offset:         88
        .size:           8
        .value_kind:     global_buffer
      - .address_space:  global
        .offset:         96
        .size:           8
        .value_kind:     global_buffer
    .group_segment_fixed_size: 31104
    .kernarg_segment_align: 8
    .kernarg_segment_size: 104
    .language:       OpenCL C
    .language_version:
      - 2
      - 0
    .max_flat_workgroup_size: 324
    .name:           bluestein_single_fwd_len3888_dim1_sp_op_CI_CI
    .private_segment_fixed_size: 0
    .sgpr_count:     17
    .sgpr_spill_count: 0
    .symbol:         bluestein_single_fwd_len3888_dim1_sp_op_CI_CI.kd
    .uniform_work_group_size: 1
    .uses_dynamic_stack: false
    .vgpr_count:     173
    .vgpr_spill_count: 0
    .wavefront_size: 32
    .workgroup_processor_mode: 1
amdhsa.target:   amdgcn-amd-amdhsa--gfx1201
amdhsa.version:
  - 1
  - 2
...

	.end_amdgpu_metadata
